;; amdgpu-corpus repo=triton-lang/triton kind=triton arch=gfx90a opt=O3 lang=triton
	.amdgcn_target "amdgcn-amd-amdhsa--gfx90a"
	.amdhsa_code_object_version 5
	.text
	.globl	_attn_bwd_preprocess            ; -- Begin function _attn_bwd_preprocess
	.p2align	8
	.type	_attn_bwd_preprocess,@function
_attn_bwd_preprocess:                   ; @_attn_bwd_preprocess
.Lfunc_begin0:
	.cfi_sections .debug_frame
	.cfi_startproc
; %bb.71:
	.file	1 "/root/src/amdgpu-assembly/repos/triton-lang__triton-aot" "attention_bwd.py"
	.loc	1 8 0 prologue_end              ; attention_bwd.py:8:0
	s_load_dwordx2 s[6:7], s[4:5], 0x0
	s_load_dwordx4 s[8:11], s[4:5], 0x8
	s_load_dwordx2 s[12:13], s[4:5], 0x18
	s_load_dword s14, s[4:5], 0x20
	s_waitcnt lgkmcnt(0)
	s_branch .LBB0_0
	.loc	1 0 0 is_stmt 0                 ; :0:0
.Ltmp0:
	.p2align	8
; %bb.72:
.LBB0_0:
.Ltmp1:
	.loc	1 17 40 is_stmt 1               ; attention_bwd.py:17:40
	s_mul_i32 s2, s16, s14
	.loc	1 13 31                         ; attention_bwd.py:13:31
	s_lshl_b32 s3, s15, 6
	.loc	1 13 54 is_stmt 0               ; attention_bwd.py:13:54
	v_lshrrev_b32_e32 v59, 7, v0
	.loc	1 17 40 is_stmt 1               ; attention_bwd.py:17:40
	s_lshl_b32 s0, s2, 7
	.loc	1 13 54                         ; attention_bwd.py:13:54
	v_or_b32_e32 v33, 2, v59
	.loc	1 13 41 is_stmt 0               ; attention_bwd.py:13:41
	v_or_b32_e32 v2, s3, v59
	.loc	1 17 20 is_stmt 1               ; attention_bwd.py:17:20
	s_ashr_i32 s1, s0, 31
	.loc	1 13 41                         ; attention_bwd.py:13:41
	v_or_b32_e32 v3, s3, v33
	.loc	1 17 20                         ; attention_bwd.py:17:20
	s_lshl_b64 s[0:1], s[0:1], 1
	.loc	1 17 65 is_stmt 0               ; attention_bwd.py:17:65
	v_lshlrev_b32_e32 v2, 7, v2
	.loc	1 13 54 is_stmt 1               ; attention_bwd.py:13:54
	v_or_b32_e32 v32, 4, v59
	.loc	1 17 20                         ; attention_bwd.py:17:20
	s_add_u32 s4, s6, s0
	.loc	1 17 65 is_stmt 0               ; attention_bwd.py:17:65
	v_lshlrev_b32_e32 v4, 7, v3
	.loc	1 17 48                         ; attention_bwd.py:17:48
	v_ashrrev_i32_e32 v3, 31, v2
	.loc	1 13 41 is_stmt 1               ; attention_bwd.py:13:41
	v_or_b32_e32 v5, s3, v32
	.loc	1 17 20                         ; attention_bwd.py:17:20
	s_addc_u32 s5, s7, s1
	.loc	1 17 48 is_stmt 0               ; attention_bwd.py:17:48
	v_lshlrev_b64 v[2:3], 1, v[2:3]
	.loc	1 17 65                         ; attention_bwd.py:17:65
	v_lshlrev_b32_e32 v6, 7, v5
	.loc	1 17 48                         ; attention_bwd.py:17:48
	v_mov_b32_e32 v5, s5
	v_add_co_u32_e32 v106, vcc, s4, v2
	.loc	1 13 54 is_stmt 1               ; attention_bwd.py:13:54
	v_or_b32_e32 v31, 6, v59
	.loc	1 17 48                         ; attention_bwd.py:17:48
	v_addc_co_u32_e32 v107, vcc, v5, v3, vcc
	v_ashrrev_i32_e32 v5, 31, v4
	.loc	1 13 41                         ; attention_bwd.py:13:41
	v_or_b32_e32 v7, s3, v31
	.loc	1 17 48                         ; attention_bwd.py:17:48
	v_lshlrev_b64 v[4:5], 1, v[4:5]
	.loc	1 17 65 is_stmt 0               ; attention_bwd.py:17:65
	v_lshlrev_b32_e32 v8, 7, v7
	.loc	1 17 48                         ; attention_bwd.py:17:48
	v_mov_b32_e32 v7, s5
	v_add_co_u32_e32 v112, vcc, s4, v4
	.loc	1 13 54 is_stmt 1               ; attention_bwd.py:13:54
	v_or_b32_e32 v30, 8, v59
	.loc	1 17 48                         ; attention_bwd.py:17:48
	v_addc_co_u32_e32 v113, vcc, v7, v5, vcc
	v_ashrrev_i32_e32 v7, 31, v6
	.loc	1 13 41                         ; attention_bwd.py:13:41
	v_or_b32_e32 v9, s3, v30
	.loc	1 17 48                         ; attention_bwd.py:17:48
	v_lshlrev_b64 v[6:7], 1, v[6:7]
	.loc	1 17 65 is_stmt 0               ; attention_bwd.py:17:65
	;; [unrolled: 14-line block ×8, first 2 shown]
	v_lshlrev_b32_e32 v22, 7, v21
	.loc	1 17 48                         ; attention_bwd.py:17:48
	v_mov_b32_e32 v21, s5
	v_add_co_u32_e32 v34, vcc, s4, v18
	v_addc_co_u32_e32 v35, vcc, v21, v19, vcc
	v_ashrrev_i32_e32 v21, 31, v20
	v_lshlrev_b64 v[20:21], 1, v[20:21]
	v_mov_b32_e32 v23, s5
	v_add_co_u32_e32 v36, vcc, s4, v20
	v_addc_co_u32_e32 v37, vcc, v23, v21, vcc
	v_ashrrev_i32_e32 v23, 31, v22
	v_lshlrev_b64 v[22:23], 1, v[22:23]
	v_mov_b32_e32 v39, s5
	v_add_co_u32_e32 v38, vcc, s4, v22
	.loc	1 18 22 is_stmt 1               ; attention_bwd.py:18:22
	s_add_u32 s0, s8, s0
	.loc	1 17 48                         ; attention_bwd.py:17:48
	v_addc_co_u32_e32 v39, vcc, v39, v23, vcc
	.loc	1 18 22                         ; attention_bwd.py:18:22
	s_addc_u32 s1, s9, s1
	.loc	1 18 50 is_stmt 0               ; attention_bwd.py:18:50
	v_mov_b32_e32 v41, s1
	v_add_co_u32_e32 v142, vcc, s0, v2
	v_addc_co_u32_e32 v143, vcc, v41, v3, vcc
	v_mov_b32_e32 v2, s1
	v_add_co_u32_e32 v144, vcc, s0, v4
	v_addc_co_u32_e32 v145, vcc, v2, v5, vcc
	v_add_co_u32_e32 v146, vcc, s0, v6
	v_addc_co_u32_e32 v147, vcc, v2, v7, vcc
	;; [unrolled: 2-line block ×8, first 2 shown]
	v_add_co_u32_e32 v94, vcc, s0, v20
	.loc	1 13 54 is_stmt 1               ; attention_bwd.py:13:54
	v_or_b32_e32 v1, 22, v59
	.loc	1 18 50                         ; attention_bwd.py:18:50
	v_addc_co_u32_e32 v95, vcc, v2, v21, vcc
	.loc	1 13 41                         ; attention_bwd.py:13:41
	v_or_b32_e32 v40, s3, v1
	.loc	1 18 50                         ; attention_bwd.py:18:50
	v_add_co_u32_e32 v96, vcc, s0, v22
	v_addc_co_u32_e32 v97, vcc, v2, v23, vcc
	.loc	1 17 65                         ; attention_bwd.py:17:65
	v_lshlrev_b32_e32 v2, 7, v40
	.loc	1 17 48 is_stmt 0               ; attention_bwd.py:17:48
	v_ashrrev_i32_e32 v3, 31, v2
	v_lshlrev_b64 v[2:3], 1, v[2:3]
	v_mov_b32_e32 v4, s5
	v_add_co_u32_e32 v104, vcc, s4, v2
	v_addc_co_u32_e32 v105, vcc, v4, v3, vcc
	.loc	1 18 50 is_stmt 1               ; attention_bwd.py:18:50
	v_mov_b32_e32 v4, s1
	v_add_co_u32_e32 v98, vcc, s0, v2
	.loc	1 13 54                         ; attention_bwd.py:13:54
	v_or_b32_e32 v2, 24, v59
	.loc	1 18 50                         ; attention_bwd.py:18:50
	v_addc_co_u32_e32 v99, vcc, v4, v3, vcc
	.loc	1 13 41                         ; attention_bwd.py:13:41
	v_or_b32_e32 v3, s3, v2
	.loc	1 17 65                         ; attention_bwd.py:17:65
	v_lshlrev_b32_e32 v4, 7, v3
	.loc	1 17 48 is_stmt 0               ; attention_bwd.py:17:48
	v_ashrrev_i32_e32 v5, 31, v4
	v_lshlrev_b64 v[4:5], 1, v[4:5]
	v_mov_b32_e32 v3, s5
	v_add_co_u32_e32 v110, vcc, s4, v4
	v_addc_co_u32_e32 v111, vcc, v3, v5, vcc
	.loc	1 18 50 is_stmt 1               ; attention_bwd.py:18:50
	v_mov_b32_e32 v3, s1
	v_add_co_u32_e32 v100, vcc, s0, v4
	v_addc_co_u32_e32 v101, vcc, v3, v5, vcc
	.loc	1 13 54                         ; attention_bwd.py:13:54
	v_or_b32_e32 v3, 26, v59
	.loc	1 13 41 is_stmt 0               ; attention_bwd.py:13:41
	v_or_b32_e32 v4, s3, v3
	.loc	1 17 65 is_stmt 1               ; attention_bwd.py:17:65
	v_lshlrev_b32_e32 v4, 7, v4
	.loc	1 17 48 is_stmt 0               ; attention_bwd.py:17:48
	v_ashrrev_i32_e32 v5, 31, v4
	v_lshlrev_b64 v[4:5], 1, v[4:5]
	v_mov_b32_e32 v6, s5
	v_add_co_u32_e32 v118, vcc, s4, v4
	v_addc_co_u32_e32 v119, vcc, v6, v5, vcc
	.loc	1 18 50 is_stmt 1               ; attention_bwd.py:18:50
	v_mov_b32_e32 v6, s1
	v_add_co_u32_e32 v102, vcc, s0, v4
	.loc	1 13 54                         ; attention_bwd.py:13:54
	v_or_b32_e32 v4, 28, v59
	.loc	1 18 50                         ; attention_bwd.py:18:50
	v_addc_co_u32_e32 v103, vcc, v6, v5, vcc
	.loc	1 13 41                         ; attention_bwd.py:13:41
	v_or_b32_e32 v5, s3, v4
	.loc	1 17 65                         ; attention_bwd.py:17:65
	v_lshlrev_b32_e32 v6, 7, v5
	.loc	1 17 48 is_stmt 0               ; attention_bwd.py:17:48
	v_ashrrev_i32_e32 v7, 31, v6
	v_lshlrev_b64 v[6:7], 1, v[6:7]
	v_mov_b32_e32 v5, s5
	v_add_co_u32_e32 v123, vcc, s4, v6
	v_addc_co_u32_e32 v124, vcc, v5, v7, vcc
	.loc	1 18 50 is_stmt 1               ; attention_bwd.py:18:50
	v_mov_b32_e32 v5, s1
	v_add_co_u32_e32 v108, vcc, s0, v6
	v_addc_co_u32_e32 v109, vcc, v5, v7, vcc
	.loc	1 13 54                         ; attention_bwd.py:13:54
	v_or_b32_e32 v5, 30, v59
	.loc	1 13 41 is_stmt 0               ; attention_bwd.py:13:41
	v_or_b32_e32 v6, s3, v5
	.loc	1 17 65 is_stmt 1               ; attention_bwd.py:17:65
	;; [unrolled: 33-line block ×8, first 2 shown]
	v_lshlrev_b32_e32 v18, 7, v18
	.loc	1 17 48 is_stmt 0               ; attention_bwd.py:17:48
	v_ashrrev_i32_e32 v19, 31, v18
	v_lshlrev_b64 v[18:19], 1, v[18:19]
	v_mov_b32_e32 v20, s5
	v_add_co_u32_e32 v54, vcc, s4, v18
	v_addc_co_u32_e32 v55, vcc, v20, v19, vcc
	.loc	1 18 50 is_stmt 1               ; attention_bwd.py:18:50
	v_mov_b32_e32 v20, s1
	v_add_co_u32_e32 v48, vcc, s0, v18
	.loc	1 13 54                         ; attention_bwd.py:13:54
	v_or_b32_e32 v18, 56, v59
	.loc	1 18 50                         ; attention_bwd.py:18:50
	v_addc_co_u32_e32 v49, vcc, v20, v19, vcc
	.loc	1 13 41                         ; attention_bwd.py:13:41
	v_or_b32_e32 v19, s3, v18
	.loc	1 17 65                         ; attention_bwd.py:17:65
	v_lshlrev_b32_e32 v20, 7, v19
	.loc	1 17 48 is_stmt 0               ; attention_bwd.py:17:48
	v_ashrrev_i32_e32 v21, 31, v20
	v_lshlrev_b64 v[20:21], 1, v[20:21]
	v_mov_b32_e32 v19, s5
	v_add_co_u32_e32 v56, vcc, s4, v20
	v_addc_co_u32_e32 v57, vcc, v19, v21, vcc
	.loc	1 18 50 is_stmt 1               ; attention_bwd.py:18:50
	v_mov_b32_e32 v19, s1
	v_add_co_u32_e32 v52, vcc, s0, v20
	.loc	1 17 82                         ; attention_bwd.py:17:82
	v_and_b32_e32 v20, 0x7f, v0
	.loc	1 18 50                         ; attention_bwd.py:18:50
	v_addc_co_u32_e32 v53, vcc, v19, v21, vcc
	.loc	1 17 76                         ; attention_bwd.py:17:76
	v_lshlrev_b32_e32 v58, 1, v20
	v_add_co_u32_e32 v20, vcc, v106, v58
	v_addc_co_u32_e32 v21, vcc, 0, v107, vcc
	v_add_co_u32_e32 v106, vcc, v112, v58
	v_addc_co_u32_e32 v107, vcc, 0, v113, vcc
	;; [unrolled: 2-line block ×8, first 2 shown]
	.loc	1 18 78                         ; attention_bwd.py:18:78
	v_add_co_u32_e32 v142, vcc, v142, v58
	v_addc_co_u32_e32 v143, vcc, 0, v143, vcc
	.loc	1 18 97 is_stmt 0               ; attention_bwd.py:18:97
	global_load_ushort v129, v[142:143], off
	.loc	1 19 23 is_stmt 1               ; attention_bwd.py:19:23
	s_nop 0
	global_load_ushort v142, v[20:21], off
	.loc	1 18 78                         ; attention_bwd.py:18:78
	v_add_co_u32_e32 v144, vcc, v144, v58
	v_addc_co_u32_e32 v145, vcc, 0, v145, vcc
	.loc	1 18 97 is_stmt 0               ; attention_bwd.py:18:97
	global_load_ushort v143, v[144:145], off
	.loc	1 19 23 is_stmt 1               ; attention_bwd.py:19:23
	s_nop 0
	global_load_ushort v144, v[106:107], off
	.loc	1 18 78                         ; attention_bwd.py:18:78
	v_add_co_u32_e32 v20, vcc, v146, v58
	v_addc_co_u32_e32 v21, vcc, 0, v147, vcc
	.loc	1 18 97 is_stmt 0               ; attention_bwd.py:18:97
	global_load_ushort v145, v[20:21], off
	.loc	1 19 23 is_stmt 1               ; attention_bwd.py:19:23
	global_load_ushort v146, v[112:113], off
	.loc	1 18 78                         ; attention_bwd.py:18:78
	v_add_co_u32_e32 v106, vcc, v148, v58
	v_addc_co_u32_e32 v107, vcc, 0, v149, vcc
	v_add_co_u32_e32 v20, vcc, v150, v58
	v_addc_co_u32_e32 v21, vcc, 0, v151, vcc
	.loc	1 18 97 is_stmt 0               ; attention_bwd.py:18:97
	global_load_ushort v147, v[106:107], off
	.loc	1 19 23 is_stmt 1               ; attention_bwd.py:19:23
	global_load_ushort v148, v[116:117], off
	.loc	1 18 97                         ; attention_bwd.py:18:97
	global_load_ushort v149, v[20:21], off
	.loc	1 19 23                         ; attention_bwd.py:19:23
	;; [unrolled: 2-line block ×3, first 2 shown]
	v_add_co_u32_e32 v20, vcc, v134, v58
	v_addc_co_u32_e32 v21, vcc, 0, v135, vcc
	.loc	1 18 97 is_stmt 0               ; attention_bwd.py:18:97
	global_load_ushort v134, v[20:21], off
	.loc	1 19 23 is_stmt 1               ; attention_bwd.py:19:23
	global_load_ushort v135, v[140:141], off
	.loc	1 18 78                         ; attention_bwd.py:18:78
	v_add_co_u32_e32 v20, vcc, v136, v58
	v_addc_co_u32_e32 v21, vcc, 0, v137, vcc
	.loc	1 18 97 is_stmt 0               ; attention_bwd.py:18:97
	global_load_ushort v136, v[20:21], off
	.loc	1 19 23 is_stmt 1               ; attention_bwd.py:19:23
	global_load_ushort v137, v[130:131], off
	.loc	1 18 78                         ; attention_bwd.py:18:78
	;; [unrolled: 7-line block ×3, first 2 shown]
	v_or_b32_e32 v19, 58, v59
	.loc	1 13 41 is_stmt 0               ; attention_bwd.py:13:41
	v_or_b32_e32 v152, s3, v19
	.loc	1 17 65 is_stmt 1               ; attention_bwd.py:17:65
	v_lshlrev_b32_e32 v20, 7, v152
	.loc	1 17 48 is_stmt 0               ; attention_bwd.py:17:48
	v_ashrrev_i32_e32 v21, 31, v20
	v_lshlrev_b64 v[20:21], 1, v[20:21]
	v_mov_b32_e32 v106, s5
	v_add_co_u32_e32 v116, vcc, s4, v20
	v_addc_co_u32_e32 v117, vcc, v106, v21, vcc
	.loc	1 18 50 is_stmt 1               ; attention_bwd.py:18:50
	v_mov_b32_e32 v107, s1
	v_add_co_u32_e32 v106, vcc, s0, v20
	v_addc_co_u32_e32 v107, vcc, v107, v21, vcc
	.loc	1 13 54                         ; attention_bwd.py:13:54
	v_or_b32_e32 v21, 60, v59
	.loc	1 13 41 is_stmt 0               ; attention_bwd.py:13:41
	v_or_b32_e32 v20, s3, v21
	.loc	1 17 65 is_stmt 1               ; attention_bwd.py:17:65
	v_lshlrev_b32_e32 v112, 7, v20
	.loc	1 17 48 is_stmt 0               ; attention_bwd.py:17:48
	v_ashrrev_i32_e32 v113, 31, v112
	v_lshlrev_b64 v[112:113], 1, v[112:113]
	v_mov_b32_e32 v20, s5
	v_add_co_u32_e32 v121, vcc, s4, v112
	v_addc_co_u32_e32 v122, vcc, v20, v113, vcc
	.loc	1 18 50 is_stmt 1               ; attention_bwd.py:18:50
	v_mov_b32_e32 v20, s1
	v_add_co_u32_e32 v112, vcc, s0, v112
	v_addc_co_u32_e32 v113, vcc, v20, v113, vcc
	.loc	1 13 54                         ; attention_bwd.py:13:54
	v_or_b32_e32 v20, 62, v59
	.loc	1 13 41 is_stmt 0               ; attention_bwd.py:13:41
	v_or_b32_e32 v59, s3, v20
	.loc	1 17 65 is_stmt 1               ; attention_bwd.py:17:65
	v_lshlrev_b32_e32 v130, 7, v59
	.loc	1 17 48 is_stmt 0               ; attention_bwd.py:17:48
	v_ashrrev_i32_e32 v131, 31, v130
	v_lshlrev_b64 v[130:131], 1, v[130:131]
	v_mov_b32_e32 v59, s5
	v_add_co_u32_e32 v125, vcc, s4, v130
	v_addc_co_u32_e32 v126, vcc, v59, v131, vcc
	.loc	1 18 50 is_stmt 1               ; attention_bwd.py:18:50
	v_mov_b32_e32 v120, s1
	v_add_co_u32_e32 v59, vcc, s0, v130
	v_addc_co_u32_e32 v120, vcc, v120, v131, vcc
	.loc	1 18 97 is_stmt 0               ; attention_bwd.py:18:97
	s_waitcnt vmcnt(15)
	v_lshlrev_b32_e32 v130, 16, v129
	.loc	1 19 23 is_stmt 1               ; attention_bwd.py:19:23
	s_waitcnt vmcnt(14)
	v_lshlrev_b32_e32 v131, 16, v142
	v_mul_f32_e32 v129, v131, v130
	.loc	1 17 76                         ; attention_bwd.py:17:76
	v_add_co_u32_e32 v34, vcc, v34, v58
.Ltmp2:
	.file	2 "/root/.local/lib/python3.13/site-packages/triton/language" "standard.py"
	.loc	2 293 36                        ; standard.py:293:36 @[ attention_bwd.py:19:19 ]
	s_nop 0
	v_mov_b32_dpp v129, v129 row_shr:8 row_mask:0xf bank_mask:0xf bound_ctrl:1
.Ltmp3:
	.loc	2 263 15                        ; standard.py:263:15 @[ standard.py:293:36 @[ attention_bwd.py:19:19 ] ]
	v_fmac_f32_e32 v129, v131, v130
.Ltmp4:
	.loc	1 18 97                         ; attention_bwd.py:18:97
	s_waitcnt vmcnt(13)
	v_lshlrev_b32_e32 v131, 16, v143
	.loc	1 19 23                         ; attention_bwd.py:19:23
	s_waitcnt vmcnt(12)
	v_lshlrev_b32_e32 v132, 16, v144
	v_mul_f32_e32 v130, v132, v131
	s_waitcnt vmcnt(10)
	v_lshlrev_b32_e32 v133, 16, v146
	.loc	1 17 76                         ; attention_bwd.py:17:76
	v_addc_co_u32_e32 v35, vcc, 0, v35, vcc
.Ltmp5:
	.loc	2 293 36                        ; standard.py:293:36 @[ attention_bwd.py:19:19 ]
	v_mov_b32_dpp v130, v130 row_shr:8 row_mask:0xf bank_mask:0xf bound_ctrl:1
.Ltmp6:
	.loc	2 263 15                        ; standard.py:263:15 @[ standard.py:293:36 @[ attention_bwd.py:19:19 ] ]
	v_fmac_f32_e32 v130, v132, v131
.Ltmp7:
	.loc	1 18 97                         ; attention_bwd.py:18:97
	v_lshlrev_b32_e32 v132, 16, v145
	.loc	1 19 23                         ; attention_bwd.py:19:23
	v_mul_f32_e32 v131, v133, v132
	s_waitcnt vmcnt(8)
	v_lshlrev_b32_e32 v140, 16, v148
	.loc	1 17 76                         ; attention_bwd.py:17:76
	v_add_co_u32_e32 v36, vcc, v36, v58
.Ltmp8:
	.loc	2 293 36                        ; standard.py:293:36 @[ attention_bwd.py:19:19 ]
	v_mov_b32_dpp v131, v131 row_shr:8 row_mask:0xf bank_mask:0xf bound_ctrl:1
.Ltmp9:
	.loc	2 263 15                        ; standard.py:263:15 @[ standard.py:293:36 @[ attention_bwd.py:19:19 ] ]
	v_fmac_f32_e32 v131, v133, v132
.Ltmp10:
	.loc	1 18 97                         ; attention_bwd.py:18:97
	v_lshlrev_b32_e32 v133, 16, v147
	.loc	1 19 23                         ; attention_bwd.py:19:23
	v_mul_f32_e32 v132, v140, v133
	.loc	1 17 76                         ; attention_bwd.py:17:76
	v_addc_co_u32_e32 v37, vcc, 0, v37, vcc
.Ltmp11:
	.loc	2 293 36                        ; standard.py:293:36 @[ attention_bwd.py:19:19 ]
	s_nop 0
	v_mov_b32_dpp v132, v132 row_shr:8 row_mask:0xf bank_mask:0xf bound_ctrl:1
.Ltmp12:
	.loc	2 263 15                        ; standard.py:263:15 @[ standard.py:293:36 @[ attention_bwd.py:19:19 ] ]
	v_fmac_f32_e32 v132, v140, v133
.Ltmp13:
	.loc	1 18 97                         ; attention_bwd.py:18:97
	s_waitcnt vmcnt(7)
	v_lshlrev_b32_e32 v140, 16, v149
	.loc	1 19 23                         ; attention_bwd.py:19:23
	s_waitcnt vmcnt(6)
	v_lshlrev_b32_e32 v141, 16, v150
	.loc	1 17 76                         ; attention_bwd.py:17:76
	v_add_co_u32_e32 v38, vcc, v38, v58
	.loc	1 19 23                         ; attention_bwd.py:19:23
	v_mul_f32_e32 v133, v141, v140
	.loc	1 17 76                         ; attention_bwd.py:17:76
	v_addc_co_u32_e32 v39, vcc, 0, v39, vcc
.Ltmp14:
	.loc	2 293 36                        ; standard.py:293:36 @[ attention_bwd.py:19:19 ]
	s_nop 0
	v_mov_b32_dpp v133, v133 row_shr:8 row_mask:0xf bank_mask:0xf bound_ctrl:1
.Ltmp15:
	.loc	1 17 76                         ; attention_bwd.py:17:76
	v_add_co_u32_e32 v104, vcc, v104, v58
.Ltmp16:
	.loc	2 263 15                        ; standard.py:263:15 @[ standard.py:293:36 @[ attention_bwd.py:19:19 ] ]
	v_fmac_f32_e32 v133, v141, v140
.Ltmp17:
	.loc	1 18 97                         ; attention_bwd.py:18:97
	s_waitcnt vmcnt(5)
	v_lshlrev_b32_e32 v140, 16, v134
	.loc	1 19 23                         ; attention_bwd.py:19:23
	s_waitcnt vmcnt(4)
	v_lshlrev_b32_e32 v135, 16, v135
	.loc	1 17 76                         ; attention_bwd.py:17:76
	v_addc_co_u32_e32 v105, vcc, 0, v105, vcc
	.loc	1 19 23                         ; attention_bwd.py:19:23
	v_mul_f32_e32 v134, v135, v140
	.loc	1 17 76                         ; attention_bwd.py:17:76
	v_add_co_u32_e32 v110, vcc, v110, v58
.Ltmp18:
	.loc	2 293 36                        ; standard.py:293:36 @[ attention_bwd.py:19:19 ]
	s_nop 0
	v_mov_b32_dpp v134, v134 row_shr:8 row_mask:0xf bank_mask:0xf bound_ctrl:1
.Ltmp19:
	.loc	1 18 97                         ; attention_bwd.py:18:97
	s_waitcnt vmcnt(3)
	v_lshlrev_b32_e32 v136, 16, v136
	.loc	1 19 23                         ; attention_bwd.py:19:23
	s_waitcnt vmcnt(2)
	v_lshlrev_b32_e32 v137, 16, v137
	.loc	1 17 76                         ; attention_bwd.py:17:76
	v_addc_co_u32_e32 v111, vcc, 0, v111, vcc
.Ltmp20:
	.loc	2 263 15                        ; standard.py:263:15 @[ standard.py:293:36 @[ attention_bwd.py:19:19 ] ]
	v_fmac_f32_e32 v134, v135, v140
.Ltmp21:
	.loc	1 19 23                         ; attention_bwd.py:19:23
	v_mul_f32_e32 v135, v137, v136
	.loc	1 17 76                         ; attention_bwd.py:17:76
	v_add_co_u32_e32 v118, vcc, v118, v58
.Ltmp22:
	.loc	2 293 36                        ; standard.py:293:36 @[ attention_bwd.py:19:19 ]
	s_nop 0
	v_mov_b32_dpp v135, v135 row_shr:8 row_mask:0xf bank_mask:0xf bound_ctrl:1
.Ltmp23:
	.loc	1 17 76                         ; attention_bwd.py:17:76
	v_addc_co_u32_e32 v119, vcc, 0, v119, vcc
.Ltmp24:
	.loc	2 263 15                        ; standard.py:263:15 @[ standard.py:293:36 @[ attention_bwd.py:19:19 ] ]
	v_fmac_f32_e32 v135, v137, v136
.Ltmp25:
	.loc	1 17 76                         ; attention_bwd.py:17:76
	v_add_co_u32_e32 v136, vcc, v123, v58
	v_addc_co_u32_e32 v137, vcc, 0, v124, vcc
	.loc	1 18 97                         ; attention_bwd.py:18:97
	s_waitcnt vmcnt(1)
	v_lshlrev_b32_e32 v140, 16, v138
	.loc	1 17 76                         ; attention_bwd.py:17:76
	v_add_co_u32_e32 v138, vcc, v127, v58
	.loc	1 19 23                         ; attention_bwd.py:19:23
	s_waitcnt vmcnt(0)
	v_lshlrev_b32_e32 v141, 16, v139
	.loc	1 17 76                         ; attention_bwd.py:17:76
	v_addc_co_u32_e32 v139, vcc, 0, v128, vcc
	.loc	1 18 78                         ; attention_bwd.py:18:78
	v_add_co_u32_e32 v92, vcc, v92, v58
	v_addc_co_u32_e32 v93, vcc, 0, v93, vcc
	v_add_co_u32_e32 v94, vcc, v94, v58
	v_addc_co_u32_e32 v95, vcc, 0, v95, vcc
	v_add_co_u32_e32 v96, vcc, v96, v58
	v_addc_co_u32_e32 v97, vcc, 0, v97, vcc
	v_add_co_u32_e32 v98, vcc, v98, v58
	v_addc_co_u32_e32 v99, vcc, 0, v99, vcc
	v_add_co_u32_e32 v100, vcc, v100, v58
	v_addc_co_u32_e32 v101, vcc, 0, v101, vcc
	v_add_co_u32_e32 v102, vcc, v102, v58
	v_addc_co_u32_e32 v103, vcc, 0, v103, vcc
	v_add_co_u32_e32 v108, vcc, v108, v58
	v_addc_co_u32_e32 v109, vcc, 0, v109, vcc
	v_add_co_u32_e32 v114, vcc, v114, v58
	v_addc_co_u32_e32 v115, vcc, 0, v115, vcc
	.loc	1 18 97 is_stmt 0               ; attention_bwd.py:18:97
	global_load_ushort v92, v[92:93], off
	s_nop 0
	global_load_ushort v93, v[94:95], off
	s_nop 0
	global_load_ushort v94, v[96:97], off
	global_load_ushort v95, v[98:99], off
	s_nop 0
	global_load_ushort v96, v[100:101], off
	global_load_ushort v97, v[102:103], off
	;; [unrolled: 1-line block ×4, first 2 shown]
	.loc	1 19 23 is_stmt 1               ; attention_bwd.py:19:23
	s_nop 0
	global_load_ushort v100, v[34:35], off
	global_load_ushort v101, v[36:37], off
	;; [unrolled: 1-line block ×4, first 2 shown]
	s_nop 0
	global_load_ushort v104, v[110:111], off
	global_load_ushort v105, v[118:119], off
                                        ; kill: killed $vgpr118 killed $vgpr119
                                        ; kill: killed $vgpr110 killed $vgpr111
	global_load_ushort v108, v[136:137], off
	global_load_ushort v109, v[138:139], off
	.loc	1 17 76                         ; attention_bwd.py:17:76
	v_add_co_u32_e32 v34, vcc, v64, v58
	v_addc_co_u32_e32 v35, vcc, 0, v65, vcc
	v_add_co_u32_e32 v36, vcc, v68, v58
	v_addc_co_u32_e32 v37, vcc, 0, v69, vcc
	v_add_co_u32_e32 v38, vcc, v76, v58
	v_addc_co_u32_e32 v39, vcc, 0, v77, vcc
	v_add_co_u32_e32 v64, vcc, v82, v58
	v_addc_co_u32_e32 v65, vcc, 0, v83, vcc
	v_add_co_u32_e32 v68, vcc, v84, v58
	v_addc_co_u32_e32 v69, vcc, 0, v85, vcc
	v_add_co_u32_e32 v76, vcc, v86, v58
	v_addc_co_u32_e32 v77, vcc, 0, v87, vcc
	v_add_co_u32_e32 v82, vcc, v88, v58
	v_addc_co_u32_e32 v83, vcc, 0, v89, vcc
	v_add_co_u32_e32 v84, vcc, v90, v58
	v_addc_co_u32_e32 v85, vcc, 0, v91, vcc
	.loc	1 18 78                         ; attention_bwd.py:18:78
	v_add_co_u32_e32 v60, vcc, v60, v58
	v_addc_co_u32_e32 v61, vcc, 0, v61, vcc
	.loc	1 18 97 is_stmt 0               ; attention_bwd.py:18:97
	global_load_ushort v86, v[60:61], off
	.loc	1 19 23 is_stmt 1               ; attention_bwd.py:19:23
	global_load_ushort v87, v[34:35], off
	.loc	1 18 78                         ; attention_bwd.py:18:78
	v_add_co_u32_e32 v62, vcc, v62, v58
	v_addc_co_u32_e32 v63, vcc, 0, v63, vcc
	.loc	1 18 97 is_stmt 0               ; attention_bwd.py:18:97
	global_load_ushort v60, v[62:63], off
	.loc	1 19 23 is_stmt 1               ; attention_bwd.py:19:23
	global_load_ushort v61, v[36:37], off
	;; [unrolled: 7-line block ×3, first 2 shown]
	.loc	1 18 78                         ; attention_bwd.py:18:78
	v_add_co_u32_e32 v36, vcc, v70, v58
	v_addc_co_u32_e32 v37, vcc, 0, v71, vcc
	v_add_co_u32_e32 v34, vcc, v72, v58
	v_addc_co_u32_e32 v35, vcc, 0, v73, vcc
	.loc	1 18 97 is_stmt 0               ; attention_bwd.py:18:97
	global_load_ushort v38, v[36:37], off
	.loc	1 19 23 is_stmt 1               ; attention_bwd.py:19:23
	global_load_ushort v39, v[64:65], off
	.loc	1 18 97                         ; attention_bwd.py:18:97
	global_load_ushort v66, v[34:35], off
	.loc	1 19 23                         ; attention_bwd.py:19:23
	;; [unrolled: 2-line block ×3, first 2 shown]
	v_add_co_u32_e32 v34, vcc, v74, v58
	v_addc_co_u32_e32 v35, vcc, 0, v75, vcc
	.loc	1 18 97 is_stmt 0               ; attention_bwd.py:18:97
	global_load_ushort v36, v[34:35], off
	.loc	1 19 23 is_stmt 1               ; attention_bwd.py:19:23
	global_load_ushort v37, v[76:77], off
	.loc	1 18 78                         ; attention_bwd.py:18:78
	v_add_co_u32_e32 v34, vcc, v78, v58
	v_addc_co_u32_e32 v35, vcc, 0, v79, vcc
	.loc	1 18 97 is_stmt 0               ; attention_bwd.py:18:97
	global_load_ushort v64, v[34:35], off
	.loc	1 19 23 is_stmt 1               ; attention_bwd.py:19:23
	global_load_ushort v65, v[82:83], off
	.loc	1 18 78                         ; attention_bwd.py:18:78
	v_add_co_u32_e32 v34, vcc, v80, v58
	v_addc_co_u32_e32 v35, vcc, 0, v81, vcc
	.loc	1 18 97 is_stmt 0               ; attention_bwd.py:18:97
	global_load_ushort v68, v[34:35], off
	.loc	1 19 23 is_stmt 1               ; attention_bwd.py:19:23
	global_load_ushort v69, v[84:85], off
	v_mul_f32_e32 v34, v141, v140
	s_waitcnt vmcnt(23)
	v_lshlrev_b32_e32 v35, 16, v100
.Ltmp26:
	.loc	2 293 36                        ; standard.py:293:36 @[ attention_bwd.py:19:19 ]
	v_mov_b32_dpp v70, v34 row_shr:8 row_mask:0xf bank_mask:0xf bound_ctrl:1
.Ltmp27:
	.loc	1 18 97                         ; attention_bwd.py:18:97
	v_lshlrev_b32_e32 v34, 16, v92
	.loc	1 19 23                         ; attention_bwd.py:19:23
	v_mul_f32_e32 v71, v35, v34
.Ltmp28:
	.loc	2 263 15                        ; standard.py:263:15 @[ standard.py:293:36 @[ attention_bwd.py:19:19 ] ]
	v_fmac_f32_e32 v70, v141, v140
.Ltmp29:
	.loc	2 293 36                        ; standard.py:293:36 @[ attention_bwd.py:19:19 ]
	s_nop 0
	v_mov_b32_dpp v71, v71 row_shr:8 row_mask:0xf bank_mask:0xf bound_ctrl:1
.Ltmp30:
	.loc	2 263 15                        ; standard.py:263:15 @[ standard.py:293:36 @[ attention_bwd.py:19:19 ] ]
	v_fmac_f32_e32 v71, v35, v34
.Ltmp31:
	.loc	1 18 97                         ; attention_bwd.py:18:97
	v_lshlrev_b32_e32 v34, 16, v93
	.loc	1 19 23                         ; attention_bwd.py:19:23
	s_waitcnt vmcnt(22)
	v_lshlrev_b32_e32 v35, 16, v101
	v_mul_f32_e32 v72, v35, v34
.Ltmp32:
	.loc	2 293 36                        ; standard.py:293:36 @[ attention_bwd.py:19:19 ]
	s_nop 1
	v_mov_b32_dpp v72, v72 row_shr:8 row_mask:0xf bank_mask:0xf bound_ctrl:1
.Ltmp33:
	.loc	2 263 15                        ; standard.py:263:15 @[ standard.py:293:36 @[ attention_bwd.py:19:19 ] ]
	v_fmac_f32_e32 v72, v35, v34
.Ltmp34:
	.loc	1 18 97                         ; attention_bwd.py:18:97
	v_lshlrev_b32_e32 v34, 16, v94
	.loc	1 19 23                         ; attention_bwd.py:19:23
	s_waitcnt vmcnt(21)
	v_lshlrev_b32_e32 v35, 16, v102
	v_mul_f32_e32 v73, v35, v34
.Ltmp35:
	.loc	2 293 36                        ; standard.py:293:36 @[ attention_bwd.py:19:19 ]
	s_nop 1
	v_mov_b32_dpp v73, v73 row_shr:8 row_mask:0xf bank_mask:0xf bound_ctrl:1
.Ltmp36:
	.loc	2 263 15                        ; standard.py:263:15 @[ standard.py:293:36 @[ attention_bwd.py:19:19 ] ]
	v_fmac_f32_e32 v73, v35, v34
.Ltmp37:
	.loc	1 18 97                         ; attention_bwd.py:18:97
	v_lshlrev_b32_e32 v34, 16, v95
	.loc	1 19 23                         ; attention_bwd.py:19:23
	s_waitcnt vmcnt(20)
	v_lshlrev_b32_e32 v35, 16, v103
	v_mul_f32_e32 v74, v35, v34
.Ltmp38:
	.loc	2 293 36                        ; standard.py:293:36 @[ attention_bwd.py:19:19 ]
	s_nop 1
	v_mov_b32_dpp v74, v74 row_shr:8 row_mask:0xf bank_mask:0xf bound_ctrl:1
.Ltmp39:
	.loc	2 263 15                        ; standard.py:263:15 @[ standard.py:293:36 @[ attention_bwd.py:19:19 ] ]
	v_fmac_f32_e32 v74, v35, v34
.Ltmp40:
	.loc	1 18 97                         ; attention_bwd.py:18:97
	v_lshlrev_b32_e32 v34, 16, v96
	.loc	1 19 23                         ; attention_bwd.py:19:23
	s_waitcnt vmcnt(19)
	v_lshlrev_b32_e32 v35, 16, v104
	v_mul_f32_e32 v75, v35, v34
.Ltmp41:
	.loc	2 293 36                        ; standard.py:293:36 @[ attention_bwd.py:19:19 ]
	s_nop 1
	v_mov_b32_dpp v75, v75 row_shr:8 row_mask:0xf bank_mask:0xf bound_ctrl:1
.Ltmp42:
	.loc	2 263 15                        ; standard.py:263:15 @[ standard.py:293:36 @[ attention_bwd.py:19:19 ] ]
	v_fmac_f32_e32 v75, v35, v34
.Ltmp43:
	.loc	1 18 97                         ; attention_bwd.py:18:97
	v_lshlrev_b32_e32 v34, 16, v97
	.loc	1 19 23                         ; attention_bwd.py:19:23
	s_waitcnt vmcnt(18)
	v_lshlrev_b32_e32 v35, 16, v105
	v_mul_f32_e32 v76, v35, v34
.Ltmp44:
	.loc	2 293 36                        ; standard.py:293:36 @[ attention_bwd.py:19:19 ]
	s_nop 1
	v_mov_b32_dpp v76, v76 row_shr:8 row_mask:0xf bank_mask:0xf bound_ctrl:1
.Ltmp45:
	.loc	2 263 15                        ; standard.py:263:15 @[ standard.py:293:36 @[ attention_bwd.py:19:19 ] ]
	v_fmac_f32_e32 v76, v35, v34
.Ltmp46:
	.loc	1 18 97                         ; attention_bwd.py:18:97
	v_lshlrev_b32_e32 v34, 16, v98
	.loc	1 19 23                         ; attention_bwd.py:19:23
	s_waitcnt vmcnt(17)
	v_lshlrev_b32_e32 v35, 16, v108
	v_mul_f32_e32 v77, v35, v34
.Ltmp47:
	.loc	2 293 36                        ; standard.py:293:36 @[ attention_bwd.py:19:19 ]
	s_nop 1
	v_mov_b32_dpp v77, v77 row_shr:8 row_mask:0xf bank_mask:0xf bound_ctrl:1
.Ltmp48:
	.loc	2 263 15                        ; standard.py:263:15 @[ standard.py:293:36 @[ attention_bwd.py:19:19 ] ]
	v_fmac_f32_e32 v77, v35, v34
.Ltmp49:
	.loc	1 18 97                         ; attention_bwd.py:18:97
	v_lshlrev_b32_e32 v34, 16, v99
	.loc	1 19 23                         ; attention_bwd.py:19:23
	s_waitcnt vmcnt(16)
	v_lshlrev_b32_e32 v35, 16, v109
	v_mul_f32_e32 v78, v35, v34
.Ltmp50:
	.loc	2 293 36                        ; standard.py:293:36 @[ attention_bwd.py:19:19 ]
	s_nop 1
	v_mov_b32_dpp v78, v78 row_shr:8 row_mask:0xf bank_mask:0xf bound_ctrl:1
.Ltmp51:
	.loc	2 263 15                        ; standard.py:263:15 @[ standard.py:293:36 @[ attention_bwd.py:19:19 ] ]
	v_fmac_f32_e32 v78, v35, v34
.Ltmp52:
	.loc	1 18 97                         ; attention_bwd.py:18:97
	s_waitcnt vmcnt(15)
	v_lshlrev_b32_e32 v34, 16, v86
	.loc	1 19 23                         ; attention_bwd.py:19:23
	s_waitcnt vmcnt(14)
	v_lshlrev_b32_e32 v35, 16, v87
	v_mul_f32_e32 v79, v35, v34
.Ltmp53:
	.loc	2 293 36                        ; standard.py:293:36 @[ attention_bwd.py:19:19 ]
	s_nop 1
	v_mov_b32_dpp v79, v79 row_shr:8 row_mask:0xf bank_mask:0xf bound_ctrl:1
.Ltmp54:
	.loc	2 263 15                        ; standard.py:263:15 @[ standard.py:293:36 @[ attention_bwd.py:19:19 ] ]
	v_fmac_f32_e32 v79, v35, v34
.Ltmp55:
	.loc	1 18 97                         ; attention_bwd.py:18:97
	s_waitcnt vmcnt(13)
	v_lshlrev_b32_e32 v34, 16, v60
	.loc	1 19 23                         ; attention_bwd.py:19:23
	s_waitcnt vmcnt(12)
	v_lshlrev_b32_e32 v35, 16, v61
	v_mul_f32_e32 v60, v35, v34
.Ltmp56:
	.loc	2 293 36                        ; standard.py:293:36 @[ attention_bwd.py:19:19 ]
	s_nop 1
	v_mov_b32_dpp v80, v60 row_shr:8 row_mask:0xf bank_mask:0xf bound_ctrl:1
.Ltmp57:
	.loc	2 263 15                        ; standard.py:263:15 @[ standard.py:293:36 @[ attention_bwd.py:19:19 ] ]
	v_fmac_f32_e32 v80, v35, v34
.Ltmp58:
	.loc	1 18 97                         ; attention_bwd.py:18:97
	s_waitcnt vmcnt(11)
	v_lshlrev_b32_e32 v34, 16, v62
	.loc	1 19 23                         ; attention_bwd.py:19:23
	s_waitcnt vmcnt(10)
	v_lshlrev_b32_e32 v35, 16, v63
	v_mul_f32_e32 v60, v35, v34
.Ltmp59:
	.loc	2 293 36                        ; standard.py:293:36 @[ attention_bwd.py:19:19 ]
	s_nop 1
	v_mov_b32_dpp v81, v60 row_shr:8 row_mask:0xf bank_mask:0xf bound_ctrl:1
.Ltmp60:
	.loc	2 263 15                        ; standard.py:263:15 @[ standard.py:293:36 @[ attention_bwd.py:19:19 ] ]
	v_fmac_f32_e32 v81, v35, v34
.Ltmp61:
	.loc	1 18 97                         ; attention_bwd.py:18:97
	s_waitcnt vmcnt(9)
	v_lshlrev_b32_e32 v34, 16, v38
	.loc	1 19 23                         ; attention_bwd.py:19:23
	s_waitcnt vmcnt(8)
	v_lshlrev_b32_e32 v35, 16, v39
	v_mul_f32_e32 v38, v35, v34
.Ltmp62:
	.loc	2 293 36                        ; standard.py:293:36 @[ attention_bwd.py:19:19 ]
	s_nop 1
	v_mov_b32_dpp v82, v38 row_shr:8 row_mask:0xf bank_mask:0xf bound_ctrl:1
.Ltmp63:
	.loc	2 263 15                        ; standard.py:263:15 @[ standard.py:293:36 @[ attention_bwd.py:19:19 ] ]
	v_fmac_f32_e32 v82, v35, v34
.Ltmp64:
	.loc	1 18 97                         ; attention_bwd.py:18:97
	s_waitcnt vmcnt(7)
	v_lshlrev_b32_e32 v34, 16, v66
	.loc	1 19 23                         ; attention_bwd.py:19:23
	s_waitcnt vmcnt(6)
	v_lshlrev_b32_e32 v35, 16, v67
	v_mul_f32_e32 v38, v35, v34
.Ltmp65:
	.loc	2 293 36                        ; standard.py:293:36 @[ attention_bwd.py:19:19 ]
	s_nop 1
	v_mov_b32_dpp v66, v38 row_shr:8 row_mask:0xf bank_mask:0xf bound_ctrl:1
.Ltmp66:
	.loc	2 263 15                        ; standard.py:263:15 @[ standard.py:293:36 @[ attention_bwd.py:19:19 ] ]
	v_fmac_f32_e32 v66, v35, v34
.Ltmp67:
	.loc	1 18 97                         ; attention_bwd.py:18:97
	s_waitcnt vmcnt(5)
	v_lshlrev_b32_e32 v34, 16, v36
	.loc	1 19 23                         ; attention_bwd.py:19:23
	s_waitcnt vmcnt(4)
	v_lshlrev_b32_e32 v35, 16, v37
	v_mul_f32_e32 v36, v35, v34
.Ltmp68:
	.loc	2 293 36                        ; standard.py:293:36 @[ attention_bwd.py:19:19 ]
	s_nop 1
	v_mov_b32_dpp v67, v36 row_shr:8 row_mask:0xf bank_mask:0xf bound_ctrl:1
.Ltmp69:
	.loc	2 263 15                        ; standard.py:263:15 @[ standard.py:293:36 @[ attention_bwd.py:19:19 ] ]
	v_fmac_f32_e32 v67, v35, v34
.Ltmp70:
	.loc	1 18 97                         ; attention_bwd.py:18:97
	s_waitcnt vmcnt(3)
	v_lshlrev_b32_e32 v34, 16, v64
	.loc	1 19 23                         ; attention_bwd.py:19:23
	s_waitcnt vmcnt(2)
	v_lshlrev_b32_e32 v35, 16, v65
	v_mul_f32_e32 v36, v35, v34
.Ltmp71:
	.loc	2 293 36                        ; standard.py:293:36 @[ attention_bwd.py:19:19 ]
	s_nop 1
	v_mov_b32_dpp v64, v36 row_shr:8 row_mask:0xf bank_mask:0xf bound_ctrl:1
.Ltmp72:
	.loc	2 263 15                        ; standard.py:263:15 @[ standard.py:293:36 @[ attention_bwd.py:19:19 ] ]
	v_fmac_f32_e32 v64, v35, v34
.Ltmp73:
	.loc	1 18 97                         ; attention_bwd.py:18:97
	s_waitcnt vmcnt(1)
	v_lshlrev_b32_e32 v34, 16, v68
	.loc	1 19 23                         ; attention_bwd.py:19:23
	s_waitcnt vmcnt(0)
	v_lshlrev_b32_e32 v35, 16, v69
	v_mul_f32_e32 v36, v35, v34
.Ltmp74:
	.loc	2 293 36                        ; standard.py:293:36 @[ attention_bwd.py:19:19 ]
	s_nop 1
	v_mov_b32_dpp v65, v36 row_shr:8 row_mask:0xf bank_mask:0xf bound_ctrl:1
.Ltmp75:
	.loc	2 263 15                        ; standard.py:263:15 @[ standard.py:293:36 @[ attention_bwd.py:19:19 ] ]
	v_fmac_f32_e32 v65, v35, v34
.Ltmp76:
	.loc	1 17 76                         ; attention_bwd.py:17:76
	v_add_co_u32_e32 v34, vcc, v42, v58
	v_addc_co_u32_e32 v35, vcc, 0, v43, vcc
	v_add_co_u32_e32 v36, vcc, v46, v58
	v_addc_co_u32_e32 v37, vcc, 0, v47, vcc
	;; [unrolled: 2-line block ×8, first 2 shown]
	.loc	1 18 78                         ; attention_bwd.py:18:78
	v_add_co_u32_e32 v22, vcc, v22, v58
	v_addc_co_u32_e32 v23, vcc, 0, v23, vcc
	v_add_co_u32_e32 v40, vcc, v40, v58
	v_addc_co_u32_e32 v41, vcc, 0, v41, vcc
	;; [unrolled: 2-line block ×8, first 2 shown]
	.loc	1 18 97 is_stmt 0               ; attention_bwd.py:18:97
	global_load_ushort v68, v[22:23], off
	global_load_ushort v69, v[40:41], off
	;; [unrolled: 1-line block ×8, first 2 shown]
	.loc	1 19 23 is_stmt 1               ; attention_bwd.py:19:23
	global_load_ushort v89, v[34:35], off
	global_load_ushort v90, v[36:37], off
	;; [unrolled: 1-line block ×7, first 2 shown]
                                        ; kill: killed $vgpr42 killed $vgpr43
                                        ; kill: killed $vgpr44 killed $vgpr45
                                        ; kill: killed $vgpr58 killed $vgpr59
                                        ; kill: killed $vgpr36 killed $vgpr37
                                        ; kill: killed $vgpr22 killed $vgpr23
                                        ; kill: killed $vgpr54 killed $vgpr55
                                        ; kill: killed $vgpr60 killed $vgpr61
                                        ; kill: killed $vgpr46 killed $vgpr47
                                        ; kill: killed $vgpr48 killed $vgpr49
                                        ; kill: killed $vgpr38 killed $vgpr39
                                        ; kill: killed $vgpr40 killed $vgpr41
                                        ; kill: killed $vgpr62 killed $vgpr63
                                        ; kill: killed $vgpr34 killed $vgpr35
                                        ; kill: killed $vgpr50 killed $vgpr51
                                        ; kill: killed $vgpr52 killed $vgpr53
	global_load_ushort v34, v[56:57], off
.Ltmp77:
	.loc	2 263 15                        ; standard.py:263:15 @[ standard.py:293:36 @[ attention_bwd.py:19:19 ] ]
	v_add_f32_dpp v22, v129, v129 row_shr:4 row_mask:0xf bank_mask:0xf bound_ctrl:1
.Ltmp78:
	.loc	1 18 97                         ; attention_bwd.py:18:97
	s_waitcnt vmcnt(15)
	v_lshlrev_b32_e32 v36, 16, v68
.Ltmp79:
	.loc	2 263 15                        ; standard.py:263:15 @[ standard.py:293:36 @[ attention_bwd.py:19:19 ] ]
	v_add_f32_dpp v22, v22, v22 row_shr:2 row_mask:0xf bank_mask:0xf bound_ctrl:1
.Ltmp80:
	.loc	1 18 97                         ; attention_bwd.py:18:97
	s_waitcnt vmcnt(14)
	v_lshlrev_b32_e32 v37, 16, v69
	s_waitcnt vmcnt(13)
	v_lshlrev_b32_e32 v38, 16, v83
.Ltmp81:
	.loc	2 263 15                        ; standard.py:263:15 @[ standard.py:293:36 @[ attention_bwd.py:19:19 ] ]
	v_add_f32_dpp v22, v22, v22 row_shr:1 row_mask:0xf bank_mask:0xf bound_ctrl:1
.Ltmp82:
	.loc	2 293 36                        ; standard.py:293:36 @[ attention_bwd.py:19:19 ]
	v_mov_b32_e32 v23, v22
.Ltmp83:
	.loc	1 18 97                         ; attention_bwd.py:18:97
	s_waitcnt vmcnt(12)
	v_lshlrev_b32_e32 v39, 16, v84
	s_waitcnt vmcnt(11)
	v_lshlrev_b32_e32 v40, 16, v85
.Ltmp84:
	.loc	2 293 36                        ; standard.py:293:36 @[ attention_bwd.py:19:19 ]
	v_mov_b32_dpp v23, v23 row_bcast:15 row_mask:0xa bank_mask:0xf bound_ctrl:1
.Ltmp85:
	.loc	2 263 15                        ; standard.py:263:15 @[ standard.py:293:36 @[ attention_bwd.py:19:19 ] ]
	v_add_f32_e32 v22, v22, v23
.Ltmp86:
	.loc	1 19 23                         ; attention_bwd.py:19:23
	s_waitcnt vmcnt(7)
	v_lshlrev_b32_e32 v44, 16, v89
	s_waitcnt vmcnt(6)
	v_lshlrev_b32_e32 v45, 16, v90
.Ltmp87:
	.loc	2 263 15                        ; standard.py:263:15 @[ standard.py:293:36 @[ attention_bwd.py:19:19 ] ]
	v_add_f32_dpp v22, v22, v22 row_bcast:31 row_mask:0xf bank_mask:0xf bound_ctrl:1
.Ltmp88:
	.loc	2 293 36                        ; standard.py:293:36 @[ attention_bwd.py:19:19 ]
	v_readlane_b32 s38, v22, 63
.Ltmp89:
	.loc	1 19 23                         ; attention_bwd.py:19:23
	s_waitcnt vmcnt(5)
	v_lshlrev_b32_e32 v46, 16, v91
.Ltmp90:
	.loc	2 263 15                        ; standard.py:263:15 @[ standard.py:293:36 @[ attention_bwd.py:19:19 ] ]
	v_add_f32_dpp v22, v130, v130 row_shr:4 row_mask:0xf bank_mask:0xf bound_ctrl:1
.Ltmp91:
	.loc	1 19 23                         ; attention_bwd.py:19:23
	s_waitcnt vmcnt(4)
	v_lshlrev_b32_e32 v47, 16, v92
	s_waitcnt vmcnt(3)
	v_lshlrev_b32_e32 v48, 16, v93
.Ltmp92:
	.loc	2 263 15                        ; standard.py:263:15 @[ standard.py:293:36 @[ attention_bwd.py:19:19 ] ]
	v_add_f32_dpp v22, v22, v22 row_shr:2 row_mask:0xf bank_mask:0xf bound_ctrl:1
.Ltmp93:
	.loc	1 18 97                         ; attention_bwd.py:18:97
	v_lshlrev_b32_e32 v41, 16, v86
	.loc	1 19 23                         ; attention_bwd.py:19:23
	s_waitcnt vmcnt(2)
	v_lshlrev_b32_e32 v49, 16, v94
.Ltmp94:
	.loc	2 263 15                        ; standard.py:263:15 @[ standard.py:293:36 @[ attention_bwd.py:19:19 ] ]
	v_add_f32_dpp v22, v22, v22 row_shr:1 row_mask:0xf bank_mask:0xf bound_ctrl:1
.Ltmp95:
	.loc	2 293 36                        ; standard.py:293:36 @[ attention_bwd.py:19:19 ]
	v_mov_b32_e32 v23, v22
.Ltmp96:
	.loc	1 18 97                         ; attention_bwd.py:18:97
	v_lshlrev_b32_e32 v42, 16, v87
	.loc	1 19 23                         ; attention_bwd.py:19:23
	s_waitcnt vmcnt(1)
	v_lshlrev_b32_e32 v50, 16, v95
.Ltmp97:
	.loc	2 293 36                        ; standard.py:293:36 @[ attention_bwd.py:19:19 ]
	v_mov_b32_dpp v23, v23 row_bcast:15 row_mask:0xa bank_mask:0xf bound_ctrl:1
.Ltmp98:
	.loc	2 263 15                        ; standard.py:263:15 @[ standard.py:293:36 @[ attention_bwd.py:19:19 ] ]
	v_add_f32_e32 v22, v22, v23
.Ltmp99:
	.loc	1 18 97                         ; attention_bwd.py:18:97
	v_lshlrev_b32_e32 v43, 16, v88
	.loc	1 19 23                         ; attention_bwd.py:19:23
	s_waitcnt vmcnt(0)
	v_lshlrev_b32_e32 v34, 16, v34
.Ltmp100:
	.loc	2 263 15                        ; standard.py:263:15 @[ standard.py:293:36 @[ attention_bwd.py:19:19 ] ]
	v_add_f32_dpp v22, v22, v22 row_bcast:31 row_mask:0xf bank_mask:0xf bound_ctrl:1
.Ltmp101:
	.loc	2 293 36                        ; standard.py:293:36 @[ attention_bwd.py:19:19 ]
	v_readlane_b32 s37, v22, 63
.Ltmp102:
	.loc	2 263 15                        ; standard.py:263:15 @[ standard.py:293:36 @[ attention_bwd.py:19:19 ] ]
	s_nop 0
	v_add_f32_dpp v22, v131, v131 row_shr:4 row_mask:0xf bank_mask:0xf bound_ctrl:1
	s_nop 1
	v_add_f32_dpp v22, v22, v22 row_shr:2 row_mask:0xf bank_mask:0xf bound_ctrl:1
	;; [unrolled: 2-line block ×3, first 2 shown]
.Ltmp103:
	.loc	2 293 36                        ; standard.py:293:36 @[ attention_bwd.py:19:19 ]
	v_mov_b32_e32 v23, v22
	s_nop 1
	v_mov_b32_dpp v23, v23 row_bcast:15 row_mask:0xa bank_mask:0xf bound_ctrl:1
.Ltmp104:
	.loc	2 263 15                        ; standard.py:263:15 @[ standard.py:293:36 @[ attention_bwd.py:19:19 ] ]
	v_add_f32_e32 v22, v22, v23
	s_nop 1
	v_add_f32_dpp v22, v22, v22 row_bcast:31 row_mask:0xf bank_mask:0xf bound_ctrl:1
.Ltmp105:
	.loc	2 293 36                        ; standard.py:293:36 @[ attention_bwd.py:19:19 ]
	v_readlane_b32 s36, v22, 63
.Ltmp106:
	.loc	2 263 15                        ; standard.py:263:15 @[ standard.py:293:36 @[ attention_bwd.py:19:19 ] ]
	s_nop 0
	v_add_f32_dpp v22, v132, v132 row_shr:4 row_mask:0xf bank_mask:0xf bound_ctrl:1
	s_nop 1
	v_add_f32_dpp v22, v22, v22 row_shr:2 row_mask:0xf bank_mask:0xf bound_ctrl:1
	;; [unrolled: 2-line block ×3, first 2 shown]
.Ltmp107:
	.loc	2 293 36                        ; standard.py:293:36 @[ attention_bwd.py:19:19 ]
	v_mov_b32_e32 v23, v22
	s_nop 1
	v_mov_b32_dpp v23, v23 row_bcast:15 row_mask:0xa bank_mask:0xf bound_ctrl:1
.Ltmp108:
	.loc	2 263 15                        ; standard.py:263:15 @[ standard.py:293:36 @[ attention_bwd.py:19:19 ] ]
	v_add_f32_e32 v22, v22, v23
	s_nop 1
	v_add_f32_dpp v22, v22, v22 row_bcast:31 row_mask:0xf bank_mask:0xf bound_ctrl:1
.Ltmp109:
	.loc	2 293 36                        ; standard.py:293:36 @[ attention_bwd.py:19:19 ]
	v_readlane_b32 s35, v22, 63
.Ltmp110:
	.loc	2 263 15                        ; standard.py:263:15 @[ standard.py:293:36 @[ attention_bwd.py:19:19 ] ]
	s_nop 0
	v_add_f32_dpp v22, v133, v133 row_shr:4 row_mask:0xf bank_mask:0xf bound_ctrl:1
	s_nop 1
	v_add_f32_dpp v22, v22, v22 row_shr:2 row_mask:0xf bank_mask:0xf bound_ctrl:1
	;; [unrolled: 2-line block ×3, first 2 shown]
.Ltmp111:
	.loc	2 293 36                        ; standard.py:293:36 @[ attention_bwd.py:19:19 ]
	v_mov_b32_e32 v23, v22
	s_nop 1
	v_mov_b32_dpp v23, v23 row_bcast:15 row_mask:0xa bank_mask:0xf bound_ctrl:1
.Ltmp112:
	.loc	2 263 15                        ; standard.py:263:15 @[ standard.py:293:36 @[ attention_bwd.py:19:19 ] ]
	v_add_f32_e32 v22, v22, v23
	s_nop 1
	v_add_f32_dpp v22, v22, v22 row_bcast:31 row_mask:0xf bank_mask:0xf bound_ctrl:1
.Ltmp113:
	.loc	2 293 36                        ; standard.py:293:36 @[ attention_bwd.py:19:19 ]
	v_readlane_b32 s34, v22, 63
.Ltmp114:
	.loc	2 263 15                        ; standard.py:263:15 @[ standard.py:293:36 @[ attention_bwd.py:19:19 ] ]
	s_nop 0
	v_add_f32_dpp v22, v134, v134 row_shr:4 row_mask:0xf bank_mask:0xf bound_ctrl:1
	s_nop 1
	v_add_f32_dpp v22, v22, v22 row_shr:2 row_mask:0xf bank_mask:0xf bound_ctrl:1
	s_nop 1
	v_add_f32_dpp v22, v22, v22 row_shr:1 row_mask:0xf bank_mask:0xf bound_ctrl:1
.Ltmp115:
	.loc	2 293 36                        ; standard.py:293:36 @[ attention_bwd.py:19:19 ]
	v_mov_b32_e32 v23, v22
	s_nop 1
	v_mov_b32_dpp v23, v23 row_bcast:15 row_mask:0xa bank_mask:0xf bound_ctrl:1
.Ltmp116:
	.loc	2 263 15                        ; standard.py:263:15 @[ standard.py:293:36 @[ attention_bwd.py:19:19 ] ]
	v_add_f32_e32 v22, v22, v23
	s_nop 1
	v_add_f32_dpp v22, v22, v22 row_bcast:31 row_mask:0xf bank_mask:0xf bound_ctrl:1
.Ltmp117:
	.loc	2 293 36                        ; standard.py:293:36 @[ attention_bwd.py:19:19 ]
	v_readlane_b32 s33, v22, 63
.Ltmp118:
	.loc	2 263 15                        ; standard.py:263:15 @[ standard.py:293:36 @[ attention_bwd.py:19:19 ] ]
	s_nop 0
	v_add_f32_dpp v22, v135, v135 row_shr:4 row_mask:0xf bank_mask:0xf bound_ctrl:1
	s_nop 1
	v_add_f32_dpp v22, v22, v22 row_shr:2 row_mask:0xf bank_mask:0xf bound_ctrl:1
	;; [unrolled: 2-line block ×3, first 2 shown]
.Ltmp119:
	.loc	2 293 36                        ; standard.py:293:36 @[ attention_bwd.py:19:19 ]
	v_mov_b32_e32 v23, v22
	s_nop 1
	v_mov_b32_dpp v23, v23 row_bcast:15 row_mask:0xa bank_mask:0xf bound_ctrl:1
.Ltmp120:
	.loc	2 263 15                        ; standard.py:263:15 @[ standard.py:293:36 @[ attention_bwd.py:19:19 ] ]
	v_add_f32_e32 v22, v22, v23
	s_nop 1
	v_add_f32_dpp v22, v22, v22 row_bcast:31 row_mask:0xf bank_mask:0xf bound_ctrl:1
.Ltmp121:
	.loc	2 293 36                        ; standard.py:293:36 @[ attention_bwd.py:19:19 ]
	v_readlane_b32 s31, v22, 63
.Ltmp122:
	.loc	2 263 15                        ; standard.py:263:15 @[ standard.py:293:36 @[ attention_bwd.py:19:19 ] ]
	s_nop 0
	v_add_f32_dpp v22, v70, v70 row_shr:4 row_mask:0xf bank_mask:0xf bound_ctrl:1
	s_nop 1
	v_add_f32_dpp v22, v22, v22 row_shr:2 row_mask:0xf bank_mask:0xf bound_ctrl:1
	;; [unrolled: 2-line block ×3, first 2 shown]
.Ltmp123:
	.loc	2 293 36                        ; standard.py:293:36 @[ attention_bwd.py:19:19 ]
	v_mov_b32_e32 v23, v22
	s_nop 1
	v_mov_b32_dpp v23, v23 row_bcast:15 row_mask:0xa bank_mask:0xf bound_ctrl:1
.Ltmp124:
	.loc	2 263 15                        ; standard.py:263:15 @[ standard.py:293:36 @[ attention_bwd.py:19:19 ] ]
	v_add_f32_e32 v22, v22, v23
	s_nop 1
	v_add_f32_dpp v22, v22, v22 row_bcast:31 row_mask:0xf bank_mask:0xf bound_ctrl:1
.Ltmp125:
	.loc	2 293 36                        ; standard.py:293:36 @[ attention_bwd.py:19:19 ]
	v_readlane_b32 s30, v22, 63
.Ltmp126:
	.loc	2 263 15                        ; standard.py:263:15 @[ standard.py:293:36 @[ attention_bwd.py:19:19 ] ]
	s_nop 0
	v_add_f32_dpp v22, v71, v71 row_shr:4 row_mask:0xf bank_mask:0xf bound_ctrl:1
	s_nop 1
	v_add_f32_dpp v22, v22, v22 row_shr:2 row_mask:0xf bank_mask:0xf bound_ctrl:1
	;; [unrolled: 2-line block ×3, first 2 shown]
.Ltmp127:
	.loc	2 293 36                        ; standard.py:293:36 @[ attention_bwd.py:19:19 ]
	v_mov_b32_e32 v23, v22
	s_nop 1
	v_mov_b32_dpp v23, v23 row_bcast:15 row_mask:0xa bank_mask:0xf bound_ctrl:1
.Ltmp128:
	.loc	2 263 15                        ; standard.py:263:15 @[ standard.py:293:36 @[ attention_bwd.py:19:19 ] ]
	v_add_f32_e32 v22, v22, v23
	s_nop 1
	v_add_f32_dpp v22, v22, v22 row_bcast:31 row_mask:0xf bank_mask:0xf bound_ctrl:1
.Ltmp129:
	.loc	2 293 36                        ; standard.py:293:36 @[ attention_bwd.py:19:19 ]
	v_readlane_b32 s29, v22, 63
.Ltmp130:
	.loc	2 263 15                        ; standard.py:263:15 @[ standard.py:293:36 @[ attention_bwd.py:19:19 ] ]
	s_nop 0
	v_add_f32_dpp v22, v72, v72 row_shr:4 row_mask:0xf bank_mask:0xf bound_ctrl:1
	s_nop 1
	v_add_f32_dpp v22, v22, v22 row_shr:2 row_mask:0xf bank_mask:0xf bound_ctrl:1
	;; [unrolled: 2-line block ×3, first 2 shown]
.Ltmp131:
	.loc	2 293 36                        ; standard.py:293:36 @[ attention_bwd.py:19:19 ]
	v_mov_b32_e32 v23, v22
	s_nop 1
	v_mov_b32_dpp v23, v23 row_bcast:15 row_mask:0xa bank_mask:0xf bound_ctrl:1
.Ltmp132:
	.loc	2 263 15                        ; standard.py:263:15 @[ standard.py:293:36 @[ attention_bwd.py:19:19 ] ]
	v_add_f32_e32 v22, v22, v23
	s_nop 1
	v_add_f32_dpp v22, v22, v22 row_bcast:31 row_mask:0xf bank_mask:0xf bound_ctrl:1
.Ltmp133:
	.loc	2 293 36                        ; standard.py:293:36 @[ attention_bwd.py:19:19 ]
	v_readlane_b32 s28, v22, 63
.Ltmp134:
	.loc	2 263 15                        ; standard.py:263:15 @[ standard.py:293:36 @[ attention_bwd.py:19:19 ] ]
	s_nop 0
	v_add_f32_dpp v22, v73, v73 row_shr:4 row_mask:0xf bank_mask:0xf bound_ctrl:1
	s_nop 1
	v_add_f32_dpp v22, v22, v22 row_shr:2 row_mask:0xf bank_mask:0xf bound_ctrl:1
	;; [unrolled: 2-line block ×3, first 2 shown]
.Ltmp135:
	.loc	2 293 36                        ; standard.py:293:36 @[ attention_bwd.py:19:19 ]
	v_mov_b32_e32 v23, v22
	s_nop 1
	v_mov_b32_dpp v23, v23 row_bcast:15 row_mask:0xa bank_mask:0xf bound_ctrl:1
.Ltmp136:
	.loc	2 263 15                        ; standard.py:263:15 @[ standard.py:293:36 @[ attention_bwd.py:19:19 ] ]
	v_add_f32_e32 v22, v22, v23
	s_nop 1
	v_add_f32_dpp v22, v22, v22 row_bcast:31 row_mask:0xf bank_mask:0xf bound_ctrl:1
.Ltmp137:
	.loc	2 293 36                        ; standard.py:293:36 @[ attention_bwd.py:19:19 ]
	v_readlane_b32 s26, v22, 63
.Ltmp138:
	.loc	2 263 15                        ; standard.py:263:15 @[ standard.py:293:36 @[ attention_bwd.py:19:19 ] ]
	s_nop 0
	v_add_f32_dpp v22, v74, v74 row_shr:4 row_mask:0xf bank_mask:0xf bound_ctrl:1
	s_nop 1
	v_add_f32_dpp v22, v22, v22 row_shr:2 row_mask:0xf bank_mask:0xf bound_ctrl:1
	;; [unrolled: 2-line block ×3, first 2 shown]
.Ltmp139:
	.loc	2 293 36                        ; standard.py:293:36 @[ attention_bwd.py:19:19 ]
	v_mov_b32_e32 v23, v22
	s_nop 1
	v_mov_b32_dpp v23, v23 row_bcast:15 row_mask:0xa bank_mask:0xf bound_ctrl:1
.Ltmp140:
	.loc	2 263 15                        ; standard.py:263:15 @[ standard.py:293:36 @[ attention_bwd.py:19:19 ] ]
	v_add_f32_e32 v22, v22, v23
	s_nop 1
	v_add_f32_dpp v22, v22, v22 row_bcast:31 row_mask:0xf bank_mask:0xf bound_ctrl:1
.Ltmp141:
	.loc	2 293 36                        ; standard.py:293:36 @[ attention_bwd.py:19:19 ]
	v_readlane_b32 s23, v22, 63
.Ltmp142:
	.loc	2 263 15                        ; standard.py:263:15 @[ standard.py:293:36 @[ attention_bwd.py:19:19 ] ]
	s_nop 0
	v_add_f32_dpp v22, v75, v75 row_shr:4 row_mask:0xf bank_mask:0xf bound_ctrl:1
	s_nop 1
	v_add_f32_dpp v22, v22, v22 row_shr:2 row_mask:0xf bank_mask:0xf bound_ctrl:1
	;; [unrolled: 2-line block ×3, first 2 shown]
.Ltmp143:
	.loc	2 293 36                        ; standard.py:293:36 @[ attention_bwd.py:19:19 ]
	v_mov_b32_e32 v23, v22
	s_nop 1
	v_mov_b32_dpp v23, v23 row_bcast:15 row_mask:0xa bank_mask:0xf bound_ctrl:1
.Ltmp144:
	.loc	2 263 15                        ; standard.py:263:15 @[ standard.py:293:36 @[ attention_bwd.py:19:19 ] ]
	v_add_f32_e32 v22, v22, v23
	s_nop 1
	v_add_f32_dpp v22, v22, v22 row_bcast:31 row_mask:0xf bank_mask:0xf bound_ctrl:1
.Ltmp145:
	.loc	2 293 36                        ; standard.py:293:36 @[ attention_bwd.py:19:19 ]
	v_readlane_b32 s21, v22, 63
.Ltmp146:
	.loc	2 263 15                        ; standard.py:263:15 @[ standard.py:293:36 @[ attention_bwd.py:19:19 ] ]
	s_nop 0
	v_add_f32_dpp v22, v76, v76 row_shr:4 row_mask:0xf bank_mask:0xf bound_ctrl:1
	s_nop 1
	v_add_f32_dpp v22, v22, v22 row_shr:2 row_mask:0xf bank_mask:0xf bound_ctrl:1
	;; [unrolled: 2-line block ×3, first 2 shown]
.Ltmp147:
	.loc	2 293 36                        ; standard.py:293:36 @[ attention_bwd.py:19:19 ]
	v_mov_b32_e32 v23, v22
	s_nop 1
	v_mov_b32_dpp v23, v23 row_bcast:15 row_mask:0xa bank_mask:0xf bound_ctrl:1
.Ltmp148:
	.loc	2 263 15                        ; standard.py:263:15 @[ standard.py:293:36 @[ attention_bwd.py:19:19 ] ]
	v_add_f32_e32 v23, v22, v23
.Ltmp149:
	.loc	1 13 54                         ; attention_bwd.py:13:54
	v_and_b32_e32 v22, 63, v0
.Ltmp150:
	.loc	2 293 36                        ; standard.py:293:36 @[ attention_bwd.py:19:19 ]
	v_cmp_eq_u32_e32 vcc, 0, v22
.Ltmp151:
	.loc	2 263 15                        ; standard.py:263:15 @[ standard.py:293:36 @[ attention_bwd.py:19:19 ] ]
	v_add_f32_dpp v23, v23, v23 row_bcast:31 row_mask:0xf bank_mask:0xf bound_ctrl:1
.Ltmp152:
	.loc	2 293 36                        ; standard.py:293:36 @[ attention_bwd.py:19:19 ]
	v_readlane_b32 s19, v23, 63
.Ltmp153:
	.loc	2 263 15                        ; standard.py:263:15 @[ standard.py:293:36 @[ attention_bwd.py:19:19 ] ]
	s_nop 0
	v_add_f32_dpp v23, v77, v77 row_shr:4 row_mask:0xf bank_mask:0xf bound_ctrl:1
	s_nop 1
	v_add_f32_dpp v23, v23, v23 row_shr:2 row_mask:0xf bank_mask:0xf bound_ctrl:1
	;; [unrolled: 2-line block ×3, first 2 shown]
.Ltmp154:
	.loc	2 293 36                        ; standard.py:293:36 @[ attention_bwd.py:19:19 ]
	v_mov_b32_e32 v35, v23
	s_nop 1
	v_mov_b32_dpp v35, v35 row_bcast:15 row_mask:0xa bank_mask:0xf bound_ctrl:1
.Ltmp155:
	.loc	2 263 15                        ; standard.py:263:15 @[ standard.py:293:36 @[ attention_bwd.py:19:19 ] ]
	v_add_f32_e32 v35, v23, v35
.Ltmp156:
	.loc	1 13 54                         ; attention_bwd.py:13:54
	v_and_b32_e32 v23, 0x80, v0
.Ltmp157:
	.loc	2 263 15                        ; standard.py:263:15 @[ standard.py:293:36 @[ attention_bwd.py:19:19 ] ]
	s_nop 0
	v_add_f32_dpp v35, v35, v35 row_bcast:31 row_mask:0xf bank_mask:0xf bound_ctrl:1
.Ltmp158:
	.loc	2 293 36                        ; standard.py:293:36 @[ attention_bwd.py:19:19 ]
	v_readlane_b32 s27, v35, 63
.Ltmp159:
	.loc	2 263 15                        ; standard.py:263:15 @[ standard.py:293:36 @[ attention_bwd.py:19:19 ] ]
	s_nop 0
	v_add_f32_dpp v35, v78, v78 row_shr:4 row_mask:0xf bank_mask:0xf bound_ctrl:1
	s_nop 1
	v_add_f32_dpp v35, v35, v35 row_shr:2 row_mask:0xf bank_mask:0xf bound_ctrl:1
	s_nop 1
	v_add_f32_dpp v35, v35, v35 row_shr:1 row_mask:0xf bank_mask:0xf bound_ctrl:1
.Ltmp160:
	.loc	2 293 36                        ; standard.py:293:36 @[ attention_bwd.py:19:19 ]
	v_mov_b32_e32 v51, v35
	s_nop 1
	v_mov_b32_dpp v51, v51 row_bcast:15 row_mask:0xa bank_mask:0xf bound_ctrl:1
.Ltmp161:
	.loc	2 263 15                        ; standard.py:263:15 @[ standard.py:293:36 @[ attention_bwd.py:19:19 ] ]
	v_add_f32_e32 v35, v35, v51
.Ltmp162:
	.loc	1 19 23                         ; attention_bwd.py:19:23
	v_mul_f32_e32 v51, v44, v36
.Ltmp163:
	.loc	2 263 15                        ; standard.py:263:15 @[ standard.py:293:36 @[ attention_bwd.py:19:19 ] ]
	s_nop 0
	v_add_f32_dpp v35, v35, v35 row_bcast:31 row_mask:0xf bank_mask:0xf bound_ctrl:1
.Ltmp164:
	.loc	2 293 36                        ; standard.py:293:36 @[ attention_bwd.py:19:19 ]
	v_readlane_b32 s25, v35, 63
.Ltmp165:
	.loc	2 263 15                        ; standard.py:263:15 @[ standard.py:293:36 @[ attention_bwd.py:19:19 ] ]
	s_nop 0
	v_add_f32_dpp v35, v79, v79 row_shr:4 row_mask:0xf bank_mask:0xf bound_ctrl:1
	s_nop 1
	v_add_f32_dpp v35, v35, v35 row_shr:2 row_mask:0xf bank_mask:0xf bound_ctrl:1
	;; [unrolled: 2-line block ×3, first 2 shown]
.Ltmp166:
	.loc	2 293 36                        ; standard.py:293:36 @[ attention_bwd.py:19:19 ]
	v_mov_b32_e32 v52, v35
	s_nop 1
	v_mov_b32_dpp v52, v52 row_bcast:15 row_mask:0xa bank_mask:0xf bound_ctrl:1
.Ltmp167:
	.loc	2 263 15                        ; standard.py:263:15 @[ standard.py:293:36 @[ attention_bwd.py:19:19 ] ]
	v_add_f32_e32 v35, v35, v52
.Ltmp168:
	.loc	1 19 23                         ; attention_bwd.py:19:23
	v_mul_f32_e32 v52, v45, v37
.Ltmp169:
	.loc	2 263 15                        ; standard.py:263:15 @[ standard.py:293:36 @[ attention_bwd.py:19:19 ] ]
	s_nop 0
	v_add_f32_dpp v35, v35, v35 row_bcast:31 row_mask:0xf bank_mask:0xf bound_ctrl:1
.Ltmp170:
	.loc	2 293 36                        ; standard.py:293:36 @[ attention_bwd.py:19:19 ]
	v_readlane_b32 s24, v35, 63
.Ltmp171:
	.loc	2 263 15                        ; standard.py:263:15 @[ standard.py:293:36 @[ attention_bwd.py:19:19 ] ]
	s_nop 0
	v_add_f32_dpp v35, v80, v80 row_shr:4 row_mask:0xf bank_mask:0xf bound_ctrl:1
	s_nop 1
	v_add_f32_dpp v35, v35, v35 row_shr:2 row_mask:0xf bank_mask:0xf bound_ctrl:1
	;; [unrolled: 2-line block ×3, first 2 shown]
.Ltmp172:
	.loc	2 293 36                        ; standard.py:293:36 @[ attention_bwd.py:19:19 ]
	v_mov_b32_e32 v53, v35
	s_nop 1
	v_mov_b32_dpp v53, v53 row_bcast:15 row_mask:0xa bank_mask:0xf bound_ctrl:1
.Ltmp173:
	.loc	2 263 15                        ; standard.py:263:15 @[ standard.py:293:36 @[ attention_bwd.py:19:19 ] ]
	v_add_f32_e32 v35, v35, v53
.Ltmp174:
	.loc	1 19 23                         ; attention_bwd.py:19:23
	v_mul_f32_e32 v53, v46, v38
.Ltmp175:
	.loc	2 263 15                        ; standard.py:263:15 @[ standard.py:293:36 @[ attention_bwd.py:19:19 ] ]
	s_nop 0
	v_add_f32_dpp v35, v35, v35 row_bcast:31 row_mask:0xf bank_mask:0xf bound_ctrl:1
.Ltmp176:
	.loc	2 293 36                        ; standard.py:293:36 @[ attention_bwd.py:19:19 ]
	v_readlane_b32 s22, v35, 63
.Ltmp177:
	.loc	2 263 15                        ; standard.py:263:15 @[ standard.py:293:36 @[ attention_bwd.py:19:19 ] ]
	s_nop 0
	v_add_f32_dpp v35, v81, v81 row_shr:4 row_mask:0xf bank_mask:0xf bound_ctrl:1
	s_nop 1
	v_add_f32_dpp v35, v35, v35 row_shr:2 row_mask:0xf bank_mask:0xf bound_ctrl:1
	;; [unrolled: 2-line block ×3, first 2 shown]
.Ltmp178:
	.loc	2 293 36                        ; standard.py:293:36 @[ attention_bwd.py:19:19 ]
	v_mov_b32_e32 v54, v35
	s_nop 1
	v_mov_b32_dpp v54, v54 row_bcast:15 row_mask:0xa bank_mask:0xf bound_ctrl:1
.Ltmp179:
	.loc	2 263 15                        ; standard.py:263:15 @[ standard.py:293:36 @[ attention_bwd.py:19:19 ] ]
	v_add_f32_e32 v35, v35, v54
.Ltmp180:
	.loc	1 19 23                         ; attention_bwd.py:19:23
	v_mul_f32_e32 v54, v47, v39
.Ltmp181:
	.loc	2 263 15                        ; standard.py:263:15 @[ standard.py:293:36 @[ attention_bwd.py:19:19 ] ]
	s_nop 0
	v_add_f32_dpp v35, v35, v35 row_bcast:31 row_mask:0xf bank_mask:0xf bound_ctrl:1
.Ltmp182:
	.loc	2 293 36                        ; standard.py:293:36 @[ attention_bwd.py:19:19 ]
	v_readlane_b32 s20, v35, 63
.Ltmp183:
	.loc	2 263 15                        ; standard.py:263:15 @[ standard.py:293:36 @[ attention_bwd.py:19:19 ] ]
	s_nop 0
	v_add_f32_dpp v35, v82, v82 row_shr:4 row_mask:0xf bank_mask:0xf bound_ctrl:1
	s_nop 1
	v_add_f32_dpp v35, v35, v35 row_shr:2 row_mask:0xf bank_mask:0xf bound_ctrl:1
	;; [unrolled: 2-line block ×3, first 2 shown]
.Ltmp184:
	.loc	2 293 36                        ; standard.py:293:36 @[ attention_bwd.py:19:19 ]
	v_mov_b32_e32 v55, v35
	s_nop 1
	v_mov_b32_dpp v55, v55 row_bcast:15 row_mask:0xa bank_mask:0xf bound_ctrl:1
.Ltmp185:
	.loc	2 263 15                        ; standard.py:263:15 @[ standard.py:293:36 @[ attention_bwd.py:19:19 ] ]
	v_add_f32_e32 v35, v35, v55
.Ltmp186:
	.loc	1 19 23                         ; attention_bwd.py:19:23
	v_mul_f32_e32 v55, v48, v40
.Ltmp187:
	.loc	2 263 15                        ; standard.py:263:15 @[ standard.py:293:36 @[ attention_bwd.py:19:19 ] ]
	s_nop 0
	v_add_f32_dpp v35, v35, v35 row_bcast:31 row_mask:0xf bank_mask:0xf bound_ctrl:1
.Ltmp188:
	.loc	2 293 36                        ; standard.py:293:36 @[ attention_bwd.py:19:19 ]
	v_readlane_b32 s18, v35, 63
.Ltmp189:
	.loc	2 263 15                        ; standard.py:263:15 @[ standard.py:293:36 @[ attention_bwd.py:19:19 ] ]
	s_nop 0
	v_add_f32_dpp v35, v66, v66 row_shr:4 row_mask:0xf bank_mask:0xf bound_ctrl:1
	s_nop 1
	v_add_f32_dpp v35, v35, v35 row_shr:2 row_mask:0xf bank_mask:0xf bound_ctrl:1
	;; [unrolled: 2-line block ×3, first 2 shown]
.Ltmp190:
	.loc	2 293 36                        ; standard.py:293:36 @[ attention_bwd.py:19:19 ]
	v_mov_b32_e32 v56, v35
	s_nop 1
	v_mov_b32_dpp v56, v56 row_bcast:15 row_mask:0xa bank_mask:0xf bound_ctrl:1
.Ltmp191:
	.loc	2 263 15                        ; standard.py:263:15 @[ standard.py:293:36 @[ attention_bwd.py:19:19 ] ]
	v_add_f32_e32 v35, v35, v56
.Ltmp192:
	.loc	1 19 23                         ; attention_bwd.py:19:23
	v_mul_f32_e32 v56, v49, v41
.Ltmp193:
	.loc	2 263 15                        ; standard.py:263:15 @[ standard.py:293:36 @[ attention_bwd.py:19:19 ] ]
	s_nop 0
	v_add_f32_dpp v35, v35, v35 row_bcast:31 row_mask:0xf bank_mask:0xf bound_ctrl:1
.Ltmp194:
	.loc	2 293 36                        ; standard.py:293:36 @[ attention_bwd.py:19:19 ]
	v_readlane_b32 s17, v35, 63
.Ltmp195:
	.loc	2 263 15                        ; standard.py:263:15 @[ standard.py:293:36 @[ attention_bwd.py:19:19 ] ]
	s_nop 0
	v_add_f32_dpp v35, v67, v67 row_shr:4 row_mask:0xf bank_mask:0xf bound_ctrl:1
	s_nop 1
	v_add_f32_dpp v35, v35, v35 row_shr:2 row_mask:0xf bank_mask:0xf bound_ctrl:1
	;; [unrolled: 2-line block ×3, first 2 shown]
.Ltmp196:
	.loc	2 293 36                        ; standard.py:293:36 @[ attention_bwd.py:19:19 ]
	v_mov_b32_e32 v57, v35
	s_nop 1
	v_mov_b32_dpp v57, v57 row_bcast:15 row_mask:0xa bank_mask:0xf bound_ctrl:1
.Ltmp197:
	.loc	2 263 15                        ; standard.py:263:15 @[ standard.py:293:36 @[ attention_bwd.py:19:19 ] ]
	v_add_f32_e32 v35, v35, v57
.Ltmp198:
	.loc	1 19 23                         ; attention_bwd.py:19:23
	v_mul_f32_e32 v57, v50, v42
.Ltmp199:
	.loc	2 263 15                        ; standard.py:263:15 @[ standard.py:293:36 @[ attention_bwd.py:19:19 ] ]
	s_nop 0
	v_add_f32_dpp v35, v35, v35 row_bcast:31 row_mask:0xf bank_mask:0xf bound_ctrl:1
.Ltmp200:
	.loc	2 293 36                        ; standard.py:293:36 @[ attention_bwd.py:19:19 ]
	v_readlane_b32 s16, v35, 63
.Ltmp201:
	.loc	2 263 15                        ; standard.py:263:15 @[ standard.py:293:36 @[ attention_bwd.py:19:19 ] ]
	s_nop 0
	v_add_f32_dpp v35, v64, v64 row_shr:4 row_mask:0xf bank_mask:0xf bound_ctrl:1
	s_nop 1
	v_add_f32_dpp v35, v35, v35 row_shr:2 row_mask:0xf bank_mask:0xf bound_ctrl:1
	;; [unrolled: 2-line block ×3, first 2 shown]
.Ltmp202:
	.loc	2 293 36                        ; standard.py:293:36 @[ attention_bwd.py:19:19 ]
	v_mov_b32_e32 v58, v35
	s_nop 1
	v_mov_b32_dpp v58, v58 row_bcast:15 row_mask:0xa bank_mask:0xf bound_ctrl:1
.Ltmp203:
	.loc	2 263 15                        ; standard.py:263:15 @[ standard.py:293:36 @[ attention_bwd.py:19:19 ] ]
	v_add_f32_e32 v35, v35, v58
.Ltmp204:
	.loc	1 19 23                         ; attention_bwd.py:19:23
	v_mul_f32_e32 v58, v34, v43
.Ltmp205:
	.loc	2 263 15                        ; standard.py:263:15 @[ standard.py:293:36 @[ attention_bwd.py:19:19 ] ]
	s_nop 0
	v_add_f32_dpp v35, v35, v35 row_bcast:31 row_mask:0xf bank_mask:0xf bound_ctrl:1
.Ltmp206:
	.loc	2 293 36                        ; standard.py:293:36 @[ attention_bwd.py:19:19 ]
	v_readlane_b32 s15, v35, 63
.Ltmp207:
	.loc	2 263 15                        ; standard.py:263:15 @[ standard.py:293:36 @[ attention_bwd.py:19:19 ] ]
	s_nop 0
	v_add_f32_dpp v35, v65, v65 row_shr:4 row_mask:0xf bank_mask:0xf bound_ctrl:1
	s_nop 1
	v_add_f32_dpp v35, v35, v35 row_shr:2 row_mask:0xf bank_mask:0xf bound_ctrl:1
	;; [unrolled: 2-line block ×3, first 2 shown]
.Ltmp208:
	.loc	2 293 36                        ; standard.py:293:36 @[ attention_bwd.py:19:19 ]
	v_mov_b32_e32 v59, v35
	s_nop 1
	v_mov_b32_dpp v59, v59 row_bcast:15 row_mask:0xa bank_mask:0xf bound_ctrl:1
.Ltmp209:
	.loc	2 263 15                        ; standard.py:263:15 @[ standard.py:293:36 @[ attention_bwd.py:19:19 ] ]
	v_add_f32_e32 v35, v35, v59
	s_nop 1
	v_add_f32_dpp v35, v35, v35 row_bcast:31 row_mask:0xf bank_mask:0xf bound_ctrl:1
.Ltmp210:
	.loc	2 293 36                        ; standard.py:293:36 @[ attention_bwd.py:19:19 ]
	v_readlane_b32 s14, v35, 63
	s_nop 0
	v_mov_b32_dpp v35, v51 row_shr:8 row_mask:0xf bank_mask:0xf bound_ctrl:1
.Ltmp211:
	.loc	2 263 15                        ; standard.py:263:15 @[ standard.py:293:36 @[ attention_bwd.py:19:19 ] ]
	v_fmac_f32_e32 v35, v44, v36
	s_nop 1
	v_add_f32_dpp v35, v35, v35 row_shr:4 row_mask:0xf bank_mask:0xf bound_ctrl:1
	s_nop 1
	v_add_f32_dpp v35, v35, v35 row_shr:2 row_mask:0xf bank_mask:0xf bound_ctrl:1
	;; [unrolled: 2-line block ×3, first 2 shown]
.Ltmp212:
	.loc	2 293 36                        ; standard.py:293:36 @[ attention_bwd.py:19:19 ]
	v_mov_b32_e32 v36, v35
	s_nop 1
	v_mov_b32_dpp v36, v36 row_bcast:15 row_mask:0xa bank_mask:0xf bound_ctrl:1
.Ltmp213:
	.loc	2 263 15                        ; standard.py:263:15 @[ standard.py:293:36 @[ attention_bwd.py:19:19 ] ]
	v_add_f32_e32 v35, v35, v36
	s_nop 1
	v_add_f32_dpp v35, v35, v35 row_bcast:31 row_mask:0xf bank_mask:0xf bound_ctrl:1
.Ltmp214:
	.loc	2 293 36                        ; standard.py:293:36 @[ attention_bwd.py:19:19 ]
	v_readlane_b32 s13, v35, 63
	s_nop 0
	v_mov_b32_dpp v35, v52 row_shr:8 row_mask:0xf bank_mask:0xf bound_ctrl:1
.Ltmp215:
	.loc	2 263 15                        ; standard.py:263:15 @[ standard.py:293:36 @[ attention_bwd.py:19:19 ] ]
	v_fmac_f32_e32 v35, v45, v37
	s_nop 1
	v_add_f32_dpp v35, v35, v35 row_shr:4 row_mask:0xf bank_mask:0xf bound_ctrl:1
	s_nop 1
	v_add_f32_dpp v35, v35, v35 row_shr:2 row_mask:0xf bank_mask:0xf bound_ctrl:1
	;; [unrolled: 2-line block ×3, first 2 shown]
.Ltmp216:
	.loc	2 293 36                        ; standard.py:293:36 @[ attention_bwd.py:19:19 ]
	v_mov_b32_e32 v36, v35
	s_nop 1
	v_mov_b32_dpp v36, v36 row_bcast:15 row_mask:0xa bank_mask:0xf bound_ctrl:1
.Ltmp217:
	.loc	2 263 15                        ; standard.py:263:15 @[ standard.py:293:36 @[ attention_bwd.py:19:19 ] ]
	v_add_f32_e32 v35, v35, v36
	s_nop 1
	v_add_f32_dpp v35, v35, v35 row_bcast:31 row_mask:0xf bank_mask:0xf bound_ctrl:1
.Ltmp218:
	.loc	2 293 36                        ; standard.py:293:36 @[ attention_bwd.py:19:19 ]
	v_readlane_b32 s12, v35, 63
	s_nop 0
	v_mov_b32_dpp v35, v53 row_shr:8 row_mask:0xf bank_mask:0xf bound_ctrl:1
.Ltmp219:
	.loc	2 263 15                        ; standard.py:263:15 @[ standard.py:293:36 @[ attention_bwd.py:19:19 ] ]
	v_fmac_f32_e32 v35, v46, v38
	s_nop 1
	v_add_f32_dpp v35, v35, v35 row_shr:4 row_mask:0xf bank_mask:0xf bound_ctrl:1
	s_nop 1
	v_add_f32_dpp v35, v35, v35 row_shr:2 row_mask:0xf bank_mask:0xf bound_ctrl:1
	s_nop 1
	v_add_f32_dpp v35, v35, v35 row_shr:1 row_mask:0xf bank_mask:0xf bound_ctrl:1
.Ltmp220:
	.loc	2 293 36                        ; standard.py:293:36 @[ attention_bwd.py:19:19 ]
	v_mov_b32_e32 v36, v35
	s_nop 1
	v_mov_b32_dpp v36, v36 row_bcast:15 row_mask:0xa bank_mask:0xf bound_ctrl:1
.Ltmp221:
	.loc	2 263 15                        ; standard.py:263:15 @[ standard.py:293:36 @[ attention_bwd.py:19:19 ] ]
	v_add_f32_e32 v35, v35, v36
	s_nop 1
	v_add_f32_dpp v35, v35, v35 row_bcast:31 row_mask:0xf bank_mask:0xf bound_ctrl:1
.Ltmp222:
	.loc	2 293 36                        ; standard.py:293:36 @[ attention_bwd.py:19:19 ]
	v_readlane_b32 s9, v35, 63
	s_nop 0
	v_mov_b32_dpp v35, v54 row_shr:8 row_mask:0xf bank_mask:0xf bound_ctrl:1
.Ltmp223:
	.loc	2 263 15                        ; standard.py:263:15 @[ standard.py:293:36 @[ attention_bwd.py:19:19 ] ]
	v_fmac_f32_e32 v35, v47, v39
	s_nop 1
	v_add_f32_dpp v35, v35, v35 row_shr:4 row_mask:0xf bank_mask:0xf bound_ctrl:1
	s_nop 1
	v_add_f32_dpp v35, v35, v35 row_shr:2 row_mask:0xf bank_mask:0xf bound_ctrl:1
	;; [unrolled: 2-line block ×3, first 2 shown]
.Ltmp224:
	.loc	2 293 36                        ; standard.py:293:36 @[ attention_bwd.py:19:19 ]
	v_mov_b32_e32 v36, v35
	s_nop 1
	v_mov_b32_dpp v36, v36 row_bcast:15 row_mask:0xa bank_mask:0xf bound_ctrl:1
.Ltmp225:
	.loc	2 263 15                        ; standard.py:263:15 @[ standard.py:293:36 @[ attention_bwd.py:19:19 ] ]
	v_add_f32_e32 v35, v35, v36
	s_nop 1
	v_add_f32_dpp v35, v35, v35 row_bcast:31 row_mask:0xf bank_mask:0xf bound_ctrl:1
.Ltmp226:
	.loc	2 293 36                        ; standard.py:293:36 @[ attention_bwd.py:19:19 ]
	v_readlane_b32 s8, v35, 63
	s_nop 0
	v_mov_b32_dpp v35, v55 row_shr:8 row_mask:0xf bank_mask:0xf bound_ctrl:1
.Ltmp227:
	.loc	2 263 15                        ; standard.py:263:15 @[ standard.py:293:36 @[ attention_bwd.py:19:19 ] ]
	v_fmac_f32_e32 v35, v48, v40
	s_nop 1
	v_add_f32_dpp v35, v35, v35 row_shr:4 row_mask:0xf bank_mask:0xf bound_ctrl:1
	s_nop 1
	v_add_f32_dpp v35, v35, v35 row_shr:2 row_mask:0xf bank_mask:0xf bound_ctrl:1
	;; [unrolled: 2-line block ×3, first 2 shown]
.Ltmp228:
	.loc	2 293 36                        ; standard.py:293:36 @[ attention_bwd.py:19:19 ]
	v_mov_b32_e32 v36, v35
	s_nop 1
	v_mov_b32_dpp v36, v36 row_bcast:15 row_mask:0xa bank_mask:0xf bound_ctrl:1
.Ltmp229:
	.loc	2 263 15                        ; standard.py:263:15 @[ standard.py:293:36 @[ attention_bwd.py:19:19 ] ]
	v_add_f32_e32 v35, v35, v36
	s_nop 1
	v_add_f32_dpp v35, v35, v35 row_bcast:31 row_mask:0xf bank_mask:0xf bound_ctrl:1
.Ltmp230:
	.loc	2 293 36                        ; standard.py:293:36 @[ attention_bwd.py:19:19 ]
	v_readlane_b32 s7, v35, 63
	s_nop 0
	v_mov_b32_dpp v35, v56 row_shr:8 row_mask:0xf bank_mask:0xf bound_ctrl:1
.Ltmp231:
	.loc	2 263 15                        ; standard.py:263:15 @[ standard.py:293:36 @[ attention_bwd.py:19:19 ] ]
	v_fmac_f32_e32 v35, v49, v41
	s_nop 1
	v_add_f32_dpp v35, v35, v35 row_shr:4 row_mask:0xf bank_mask:0xf bound_ctrl:1
	s_nop 1
	v_add_f32_dpp v35, v35, v35 row_shr:2 row_mask:0xf bank_mask:0xf bound_ctrl:1
	;; [unrolled: 2-line block ×3, first 2 shown]
.Ltmp232:
	.loc	2 293 36                        ; standard.py:293:36 @[ attention_bwd.py:19:19 ]
	v_mov_b32_e32 v36, v35
	s_nop 1
	v_mov_b32_dpp v36, v36 row_bcast:15 row_mask:0xa bank_mask:0xf bound_ctrl:1
.Ltmp233:
	.loc	2 263 15                        ; standard.py:263:15 @[ standard.py:293:36 @[ attention_bwd.py:19:19 ] ]
	v_add_f32_e32 v35, v35, v36
	s_nop 1
	v_add_f32_dpp v35, v35, v35 row_bcast:31 row_mask:0xf bank_mask:0xf bound_ctrl:1
.Ltmp234:
	.loc	2 293 36                        ; standard.py:293:36 @[ attention_bwd.py:19:19 ]
	v_readlane_b32 s6, v35, 63
	s_nop 0
	v_mov_b32_dpp v35, v57 row_shr:8 row_mask:0xf bank_mask:0xf bound_ctrl:1
.Ltmp235:
	.loc	2 263 15                        ; standard.py:263:15 @[ standard.py:293:36 @[ attention_bwd.py:19:19 ] ]
	v_fmac_f32_e32 v35, v50, v42
	s_nop 1
	v_add_f32_dpp v35, v35, v35 row_shr:4 row_mask:0xf bank_mask:0xf bound_ctrl:1
	s_nop 1
	v_add_f32_dpp v35, v35, v35 row_shr:2 row_mask:0xf bank_mask:0xf bound_ctrl:1
	s_nop 1
	v_add_f32_dpp v35, v35, v35 row_shr:1 row_mask:0xf bank_mask:0xf bound_ctrl:1
.Ltmp236:
	.loc	2 293 36                        ; standard.py:293:36 @[ attention_bwd.py:19:19 ]
	v_mov_b32_e32 v36, v35
	s_nop 1
	v_mov_b32_dpp v36, v36 row_bcast:15 row_mask:0xa bank_mask:0xf bound_ctrl:1
.Ltmp237:
	.loc	2 263 15                        ; standard.py:263:15 @[ standard.py:293:36 @[ attention_bwd.py:19:19 ] ]
	v_add_f32_e32 v35, v35, v36
	s_nop 1
	v_add_f32_dpp v35, v35, v35 row_bcast:31 row_mask:0xf bank_mask:0xf bound_ctrl:1
.Ltmp238:
	.loc	2 293 36                        ; standard.py:293:36 @[ attention_bwd.py:19:19 ]
	v_readlane_b32 s5, v35, 63
	s_nop 0
	v_mov_b32_dpp v35, v58 row_shr:8 row_mask:0xf bank_mask:0xf bound_ctrl:1
.Ltmp239:
	.loc	2 263 15                        ; standard.py:263:15 @[ standard.py:293:36 @[ attention_bwd.py:19:19 ] ]
	v_fmac_f32_e32 v35, v34, v43
	s_nop 1
	v_add_f32_dpp v34, v35, v35 row_shr:4 row_mask:0xf bank_mask:0xf bound_ctrl:1
	s_nop 1
	v_add_f32_dpp v34, v34, v34 row_shr:2 row_mask:0xf bank_mask:0xf bound_ctrl:1
	;; [unrolled: 2-line block ×3, first 2 shown]
.Ltmp240:
	.loc	2 293 36                        ; standard.py:293:36 @[ attention_bwd.py:19:19 ]
	v_mov_b32_e32 v35, v34
	s_nop 1
	v_mov_b32_dpp v35, v35 row_bcast:15 row_mask:0xa bank_mask:0xf bound_ctrl:1
.Ltmp241:
	.loc	2 263 15                        ; standard.py:263:15 @[ standard.py:293:36 @[ attention_bwd.py:19:19 ] ]
	v_add_f32_e32 v34, v34, v35
.Ltmp242:
	.loc	2 293 36                        ; standard.py:293:36 @[ attention_bwd.py:19:19 ]
	v_bfe_u32 v35, v0, 6, 1
.Ltmp243:
	.loc	2 263 15                        ; standard.py:263:15 @[ standard.py:293:36 @[ attention_bwd.py:19:19 ] ]
	s_nop 0
	v_add_f32_dpp v34, v34, v34 row_bcast:31 row_mask:0xf bank_mask:0xf bound_ctrl:1
.Ltmp244:
	.loc	2 293 36                        ; standard.py:293:36 @[ attention_bwd.py:19:19 ]
	v_readlane_b32 s4, v34, 63
	v_lshrrev_b32_e32 v34, 6, v23
	v_lshl_add_u32 v34, v34, 2, 0
	s_and_saveexec_b64 s[0:1], vcc
	s_cbranch_execnz .LBB0_40
; %bb.1:
	.loc	2 0 36 is_stmt 0                ; standard.py:0:36
	s_or_b64 exec, exec, s[0:1]
	.loc	2 293 36                        ; standard.py:293:36 @[ attention_bwd.py:19:19 ]
	s_and_saveexec_b64 s[0:1], vcc
	s_cbranch_execnz .LBB0_41
.LBB0_2:
	.loc	2 0 36                          ; standard.py:0:36
	s_or_b64 exec, exec, s[0:1]
	.loc	2 293 36                        ; standard.py:293:36 @[ attention_bwd.py:19:19 ]
	s_and_saveexec_b64 s[0:1], vcc
	s_cbranch_execnz .LBB0_42
.LBB0_3:
	.loc	2 0 36                          ; standard.py:0:36
	s_or_b64 exec, exec, s[0:1]
	.loc	2 293 36                        ; standard.py:293:36 @[ attention_bwd.py:19:19 ]
	s_and_saveexec_b64 s[0:1], vcc
	s_cbranch_execnz .LBB0_43
.LBB0_4:
	.loc	2 0 36                          ; standard.py:0:36
	s_or_b64 exec, exec, s[0:1]
	.loc	2 293 36                        ; standard.py:293:36 @[ attention_bwd.py:19:19 ]
	s_and_saveexec_b64 s[0:1], vcc
	s_cbranch_execnz .LBB0_44
.LBB0_5:
	.loc	2 0 36                          ; standard.py:0:36
	s_or_b64 exec, exec, s[0:1]
	.loc	2 293 36                        ; standard.py:293:36 @[ attention_bwd.py:19:19 ]
	s_and_saveexec_b64 s[0:1], vcc
	s_cbranch_execnz .LBB0_45
.LBB0_6:
	.loc	2 0 36                          ; standard.py:0:36
	s_or_b64 exec, exec, s[0:1]
	.loc	2 293 36                        ; standard.py:293:36 @[ attention_bwd.py:19:19 ]
	s_and_saveexec_b64 s[0:1], vcc
	s_cbranch_execnz .LBB0_46
.LBB0_7:
	.loc	2 0 36                          ; standard.py:0:36
	s_or_b64 exec, exec, s[0:1]
	.loc	2 293 36                        ; standard.py:293:36 @[ attention_bwd.py:19:19 ]
	s_and_saveexec_b64 s[0:1], vcc
	s_cbranch_execnz .LBB0_47
.LBB0_8:
	.loc	2 0 36                          ; standard.py:0:36
	s_or_b64 exec, exec, s[0:1]
	.loc	2 293 36                        ; standard.py:293:36 @[ attention_bwd.py:19:19 ]
	s_and_saveexec_b64 s[0:1], vcc
	s_cbranch_execnz .LBB0_48
.LBB0_9:
	.loc	2 0 36                          ; standard.py:0:36
	s_or_b64 exec, exec, s[0:1]
	.loc	2 293 36                        ; standard.py:293:36 @[ attention_bwd.py:19:19 ]
	s_and_saveexec_b64 s[0:1], vcc
	s_cbranch_execnz .LBB0_49
.LBB0_10:
	.loc	2 0 36                          ; standard.py:0:36
	s_or_b64 exec, exec, s[0:1]
	.loc	2 293 36                        ; standard.py:293:36 @[ attention_bwd.py:19:19 ]
	s_and_saveexec_b64 s[0:1], vcc
	s_cbranch_execnz .LBB0_50
.LBB0_11:
	.loc	2 0 36                          ; standard.py:0:36
	s_or_b64 exec, exec, s[0:1]
	.loc	2 293 36                        ; standard.py:293:36 @[ attention_bwd.py:19:19 ]
	s_and_saveexec_b64 s[0:1], vcc
	s_cbranch_execnz .LBB0_51
.LBB0_12:
	.loc	2 0 36                          ; standard.py:0:36
	s_or_b64 exec, exec, s[0:1]
	.loc	2 293 36                        ; standard.py:293:36 @[ attention_bwd.py:19:19 ]
	s_and_saveexec_b64 s[0:1], vcc
	s_cbranch_execnz .LBB0_52
.LBB0_13:
	.loc	2 0 36                          ; standard.py:0:36
	s_or_b64 exec, exec, s[0:1]
	.loc	2 293 36                        ; standard.py:293:36 @[ attention_bwd.py:19:19 ]
	s_and_saveexec_b64 s[0:1], vcc
	s_cbranch_execnz .LBB0_53
.LBB0_14:
	.loc	2 0 36                          ; standard.py:0:36
	s_or_b64 exec, exec, s[0:1]
	.loc	2 293 36                        ; standard.py:293:36 @[ attention_bwd.py:19:19 ]
	s_and_saveexec_b64 s[0:1], vcc
	s_cbranch_execnz .LBB0_54
.LBB0_15:
	.loc	2 0 36                          ; standard.py:0:36
	s_or_b64 exec, exec, s[0:1]
	.loc	2 293 36                        ; standard.py:293:36 @[ attention_bwd.py:19:19 ]
	s_and_saveexec_b64 s[0:1], vcc
	s_cbranch_execnz .LBB0_55
.LBB0_16:
	.loc	2 0 36                          ; standard.py:0:36
	s_or_b64 exec, exec, s[0:1]
	.loc	2 293 36                        ; standard.py:293:36 @[ attention_bwd.py:19:19 ]
	s_and_saveexec_b64 s[0:1], vcc
	s_cbranch_execnz .LBB0_56
.LBB0_17:
	.loc	2 0 36                          ; standard.py:0:36
	s_or_b64 exec, exec, s[0:1]
	.loc	2 293 36                        ; standard.py:293:36 @[ attention_bwd.py:19:19 ]
	s_and_saveexec_b64 s[0:1], vcc
	s_cbranch_execnz .LBB0_57
.LBB0_18:
	.loc	2 0 36                          ; standard.py:0:36
	s_or_b64 exec, exec, s[0:1]
	.loc	2 293 36                        ; standard.py:293:36 @[ attention_bwd.py:19:19 ]
	s_and_saveexec_b64 s[0:1], vcc
	s_cbranch_execnz .LBB0_58
.LBB0_19:
	.loc	2 0 36                          ; standard.py:0:36
	s_or_b64 exec, exec, s[0:1]
	.loc	2 293 36                        ; standard.py:293:36 @[ attention_bwd.py:19:19 ]
	s_and_saveexec_b64 s[0:1], vcc
	s_cbranch_execnz .LBB0_59
.LBB0_20:
	.loc	2 0 36                          ; standard.py:0:36
	s_or_b64 exec, exec, s[0:1]
	.loc	2 293 36                        ; standard.py:293:36 @[ attention_bwd.py:19:19 ]
	s_and_saveexec_b64 s[0:1], vcc
	s_cbranch_execnz .LBB0_60
.LBB0_21:
	.loc	2 0 36                          ; standard.py:0:36
	s_or_b64 exec, exec, s[0:1]
	.loc	2 293 36                        ; standard.py:293:36 @[ attention_bwd.py:19:19 ]
	s_and_saveexec_b64 s[0:1], vcc
	s_cbranch_execnz .LBB0_61
.LBB0_22:
	.loc	2 0 36                          ; standard.py:0:36
	s_or_b64 exec, exec, s[0:1]
	.loc	2 293 36                        ; standard.py:293:36 @[ attention_bwd.py:19:19 ]
	s_and_saveexec_b64 s[0:1], vcc
	s_cbranch_execnz .LBB0_62
.LBB0_23:
	.loc	2 0 36                          ; standard.py:0:36
	s_or_b64 exec, exec, s[0:1]
	.loc	2 293 36                        ; standard.py:293:36 @[ attention_bwd.py:19:19 ]
	s_and_saveexec_b64 s[0:1], vcc
	s_cbranch_execnz .LBB0_63
.LBB0_24:
	.loc	2 0 36                          ; standard.py:0:36
	s_or_b64 exec, exec, s[0:1]
	.loc	2 293 36                        ; standard.py:293:36 @[ attention_bwd.py:19:19 ]
	s_and_saveexec_b64 s[0:1], vcc
	s_cbranch_execnz .LBB0_64
.LBB0_25:
	.loc	2 0 36                          ; standard.py:0:36
	s_or_b64 exec, exec, s[0:1]
	.loc	2 293 36                        ; standard.py:293:36 @[ attention_bwd.py:19:19 ]
	s_and_saveexec_b64 s[0:1], vcc
	s_cbranch_execnz .LBB0_65
.LBB0_26:
	.loc	2 0 36                          ; standard.py:0:36
	s_or_b64 exec, exec, s[0:1]
	.loc	2 293 36                        ; standard.py:293:36 @[ attention_bwd.py:19:19 ]
	s_and_saveexec_b64 s[0:1], vcc
	s_cbranch_execnz .LBB0_66
.LBB0_27:
	.loc	2 0 36                          ; standard.py:0:36
	s_or_b64 exec, exec, s[0:1]
	.loc	2 293 36                        ; standard.py:293:36 @[ attention_bwd.py:19:19 ]
	s_and_saveexec_b64 s[0:1], vcc
	s_cbranch_execnz .LBB0_67
.LBB0_28:
	.loc	2 0 36                          ; standard.py:0:36
	s_or_b64 exec, exec, s[0:1]
	.loc	2 293 36                        ; standard.py:293:36 @[ attention_bwd.py:19:19 ]
	s_and_saveexec_b64 s[0:1], vcc
	s_cbranch_execnz .LBB0_68
.LBB0_29:
	.loc	2 0 36                          ; standard.py:0:36
	s_or_b64 exec, exec, s[0:1]
	.loc	2 293 36                        ; standard.py:293:36 @[ attention_bwd.py:19:19 ]
	s_and_saveexec_b64 s[0:1], vcc
	s_cbranch_execnz .LBB0_69
.LBB0_30:
	.loc	2 0 36                          ; standard.py:0:36
	s_or_b64 exec, exec, s[0:1]
	.loc	2 293 36                        ; standard.py:293:36 @[ attention_bwd.py:19:19 ]
	s_and_saveexec_b64 s[0:1], vcc
	s_cbranch_execnz .LBB0_70
.LBB0_31:
	.loc	2 0 36                          ; standard.py:0:36
	s_or_b64 exec, exec, s[0:1]
	.loc	2 293 36                        ; standard.py:293:36 @[ attention_bwd.py:19:19 ]
	s_and_saveexec_b64 s[0:1], vcc
.LBB0_32:
	.loc	2 0 36                          ; standard.py:0:36
	v_lshl_add_u32 v1, v20, 3, 0
	v_lshl_add_u32 v1, v35, 2, v1
	.loc	2 293 36                        ; standard.py:293:36 @[ attention_bwd.py:19:19 ]
	v_mov_b32_e32 v2, s4
	ds_write_b32 v1, v2
.LBB0_33:
	.loc	2 0 36                          ; standard.py:0:36
	s_or_b64 exec, exec, s[0:1]
	s_movk_i32 s0, 0x80
	.loc	2 293 36                        ; standard.py:293:36 @[ attention_bwd.py:19:19 ]
	v_cmp_gt_u32_e32 vcc, s0, v0
	v_lshl_add_u32 v2, v0, 2, 0
.Ltmp245:
	.loc	1 19 19 is_stmt 1               ; attention_bwd.py:19:19
	v_mov_b32_e32 v3, 0
.Ltmp246:
	.loc	2 293 36                        ; standard.py:293:36 @[ attention_bwd.py:19:19 ]
	s_waitcnt lgkmcnt(0)
	s_barrier
	s_and_saveexec_b64 s[0:1], vcc
; %bb.34:
	ds_read_b32 v3, v2
; %bb.35:
	.loc	2 0 36 is_stmt 0                ; standard.py:0:36
	s_or_b64 exec, exec, s[0:1]
	.loc	2 293 36                        ; standard.py:293:36 @[ attention_bwd.py:19:19 ]
	v_and_b32_e32 v5, 1, v0
	s_waitcnt lgkmcnt(0)
	v_mov_b32_e32 v4, v3
	v_cmp_eq_u32_e64 s[0:1], 0, v5
.Ltmp247:
	.loc	1 0 0                           ; attention_bwd.py:0
	v_lshrrev_b32_e32 v1, 6, v0
.Ltmp248:
	.loc	2 293 36                        ; standard.py:293:36 @[ attention_bwd.py:19:19 ]
	v_mov_b32_dpp v4, v4 quad_perm:[1,0,3,2] row_mask:0xf bank_mask:0xf
	s_and_b64 s[4:5], vcc, s[0:1]
	s_and_saveexec_b64 s[0:1], s[4:5]
; %bb.36:
	.loc	2 0 36                          ; standard.py:0:36
	v_add_f32_e32 v3, v3, v4
	.loc	2 293 36                        ; standard.py:293:36 @[ attention_bwd.py:19:19 ]
	ds_write_b32 v2, v3
; %bb.37:
	.loc	2 0 36                          ; standard.py:0:36
	s_or_b64 exec, exec, s[0:1]
	.loc	2 293 36                        ; standard.py:293:36 @[ attention_bwd.py:19:19 ]
	s_waitcnt lgkmcnt(0)
	s_barrier
	ds_read2_b32 v[4:5], v34 offset1:4
	ds_read2_b32 v[6:7], v34 offset0:8 offset1:12
	ds_read2_b32 v[8:9], v34 offset0:16 offset1:20
	;; [unrolled: 1-line block ×15, first 2 shown]
.Ltmp249:
	.loc	1 21 45 is_stmt 1               ; attention_bwd.py:21:45
	v_add_u32_e32 v2, 0, v23
	v_cmp_eq_u32_e32 vcc, 0, v1
	s_waitcnt lgkmcnt(0)
	s_barrier
	ds_write_b128 v2, v[4:7]
	ds_write_b128 v2, v[8:11] offset:16
	ds_write_b128 v2, v[12:15] offset:32
	;; [unrolled: 1-line block ×7, first 2 shown]
	s_waitcnt lgkmcnt(0)
	s_barrier
	s_and_saveexec_b64 s[0:1], vcc
	s_cbranch_execz .LBB0_39
; %bb.38:
	v_lshlrev_b32_e32 v1, 7, v0
	v_lshlrev_b32_e32 v0, 1, v0
	.loc	1 13 41                         ; attention_bwd.py:13:41
	v_or_b32_e32 v2, s3, v22
	.loc	1 21 45                         ; attention_bwd.py:21:45
	v_and_b32_e32 v1, 0x80, v1
	v_and_b32_e32 v0, 0x7c, v0
	v_add3_u32 v4, 0, v1, v0
	.loc	1 21 21 is_stmt 0               ; attention_bwd.py:21:21
	s_ashr_i32 s3, s2, 31
	.loc	1 21 38                         ; attention_bwd.py:21:38
	v_ashrrev_i32_e32 v3, 31, v2
	.loc	1 21 21                         ; attention_bwd.py:21:21
	s_lshl_b64 s[0:1], s[2:3], 2
	.loc	1 21 38                         ; attention_bwd.py:21:38
	v_lshlrev_b64 v[0:1], 2, v[2:3]
	.loc	1 21 45                         ; attention_bwd.py:21:45
	ds_read_b32 v3, v4
	.loc	1 21 21                         ; attention_bwd.py:21:21
	s_add_u32 s0, s10, s0
	s_addc_u32 s1, s11, s1
	.loc	1 21 38                         ; attention_bwd.py:21:38
	v_mov_b32_e32 v2, s1
	v_add_co_u32_e32 v0, vcc, s0, v0
	v_addc_co_u32_e32 v1, vcc, v2, v1, vcc
	.loc	1 21 45                         ; attention_bwd.py:21:45
	s_waitcnt lgkmcnt(0)
	global_store_dword v[0:1], v3, off
.LBB0_39:
	.loc	1 21 4                          ; attention_bwd.py:21:4
	s_endpgm
.LBB0_40:
	.loc	1 0 4                           ; attention_bwd.py:0:4
	v_lshl_add_u32 v36, v35, 2, v34
.Ltmp250:
	.loc	2 293 36 is_stmt 1              ; standard.py:293:36 @[ attention_bwd.py:19:19 ]
	v_mov_b32_e32 v37, s38
	ds_write_b32 v36, v37
	s_or_b64 exec, exec, s[0:1]
	s_and_saveexec_b64 s[0:1], vcc
	s_cbranch_execz .LBB0_2
.LBB0_41:
	.loc	2 0 36 is_stmt 0                ; standard.py:0:36
	v_lshl_add_u32 v33, v33, 3, 0
	v_lshl_add_u32 v33, v35, 2, v33
	.loc	2 293 36                        ; standard.py:293:36 @[ attention_bwd.py:19:19 ]
	v_mov_b32_e32 v36, s37
	ds_write_b32 v33, v36
	s_or_b64 exec, exec, s[0:1]
	s_and_saveexec_b64 s[0:1], vcc
	s_cbranch_execz .LBB0_3
.LBB0_42:
	.loc	2 0 36                          ; standard.py:0:36
	v_lshl_add_u32 v32, v32, 3, 0
	v_lshl_add_u32 v32, v35, 2, v32
	.loc	2 293 36                        ; standard.py:293:36 @[ attention_bwd.py:19:19 ]
	v_mov_b32_e32 v33, s36
	ds_write_b32 v32, v33
	s_or_b64 exec, exec, s[0:1]
	s_and_saveexec_b64 s[0:1], vcc
	s_cbranch_execz .LBB0_4
.LBB0_43:
	.loc	2 0 36                          ; standard.py:0:36
	v_lshl_add_u32 v31, v31, 3, 0
	v_lshl_add_u32 v31, v35, 2, v31
	.loc	2 293 36                        ; standard.py:293:36 @[ attention_bwd.py:19:19 ]
	v_mov_b32_e32 v32, s35
	ds_write_b32 v31, v32
	s_or_b64 exec, exec, s[0:1]
	s_and_saveexec_b64 s[0:1], vcc
	s_cbranch_execz .LBB0_5
.LBB0_44:
	.loc	2 0 36                          ; standard.py:0:36
	v_lshl_add_u32 v30, v30, 3, 0
	v_lshl_add_u32 v30, v35, 2, v30
	.loc	2 293 36                        ; standard.py:293:36 @[ attention_bwd.py:19:19 ]
	v_mov_b32_e32 v31, s34
	ds_write_b32 v30, v31
	s_or_b64 exec, exec, s[0:1]
	s_and_saveexec_b64 s[0:1], vcc
	s_cbranch_execz .LBB0_6
.LBB0_45:
	.loc	2 0 36                          ; standard.py:0:36
	v_lshl_add_u32 v29, v29, 3, 0
	v_lshl_add_u32 v29, v35, 2, v29
	.loc	2 293 36                        ; standard.py:293:36 @[ attention_bwd.py:19:19 ]
	v_mov_b32_e32 v30, s33
	ds_write_b32 v29, v30
	s_or_b64 exec, exec, s[0:1]
	s_and_saveexec_b64 s[0:1], vcc
	s_cbranch_execz .LBB0_7
.LBB0_46:
	.loc	2 0 36                          ; standard.py:0:36
	v_lshl_add_u32 v28, v28, 3, 0
	v_lshl_add_u32 v28, v35, 2, v28
	.loc	2 293 36                        ; standard.py:293:36 @[ attention_bwd.py:19:19 ]
	v_mov_b32_e32 v29, s31
	ds_write_b32 v28, v29
	s_or_b64 exec, exec, s[0:1]
	s_and_saveexec_b64 s[0:1], vcc
	s_cbranch_execz .LBB0_8
.LBB0_47:
	.loc	2 0 36                          ; standard.py:0:36
	v_lshl_add_u32 v27, v27, 3, 0
	v_lshl_add_u32 v27, v35, 2, v27
	.loc	2 293 36                        ; standard.py:293:36 @[ attention_bwd.py:19:19 ]
	v_mov_b32_e32 v28, s30
	ds_write_b32 v27, v28
	s_or_b64 exec, exec, s[0:1]
	s_and_saveexec_b64 s[0:1], vcc
	s_cbranch_execz .LBB0_9
.LBB0_48:
	.loc	2 0 36                          ; standard.py:0:36
	v_lshl_add_u32 v26, v26, 3, 0
	v_lshl_add_u32 v26, v35, 2, v26
	.loc	2 293 36                        ; standard.py:293:36 @[ attention_bwd.py:19:19 ]
	v_mov_b32_e32 v27, s29
	ds_write_b32 v26, v27
	s_or_b64 exec, exec, s[0:1]
	s_and_saveexec_b64 s[0:1], vcc
	s_cbranch_execz .LBB0_10
.LBB0_49:
	.loc	2 0 36                          ; standard.py:0:36
	v_lshl_add_u32 v25, v25, 3, 0
	v_lshl_add_u32 v25, v35, 2, v25
	.loc	2 293 36                        ; standard.py:293:36 @[ attention_bwd.py:19:19 ]
	v_mov_b32_e32 v26, s28
	ds_write_b32 v25, v26
	s_or_b64 exec, exec, s[0:1]
	s_and_saveexec_b64 s[0:1], vcc
	s_cbranch_execz .LBB0_11
.LBB0_50:
	.loc	2 0 36                          ; standard.py:0:36
	v_lshl_add_u32 v24, v24, 3, 0
	v_lshl_add_u32 v24, v35, 2, v24
	.loc	2 293 36                        ; standard.py:293:36 @[ attention_bwd.py:19:19 ]
	v_mov_b32_e32 v25, s26
	ds_write_b32 v24, v25
	s_or_b64 exec, exec, s[0:1]
	s_and_saveexec_b64 s[0:1], vcc
	s_cbranch_execz .LBB0_12
.LBB0_51:
	.loc	2 0 36                          ; standard.py:0:36
	v_lshl_add_u32 v1, v1, 3, 0
	v_lshl_add_u32 v1, v35, 2, v1
	.loc	2 293 36                        ; standard.py:293:36 @[ attention_bwd.py:19:19 ]
	v_mov_b32_e32 v24, s23
	ds_write_b32 v1, v24
	s_or_b64 exec, exec, s[0:1]
	s_and_saveexec_b64 s[0:1], vcc
	s_cbranch_execz .LBB0_13
.LBB0_52:
	.loc	2 0 36                          ; standard.py:0:36
	v_lshl_add_u32 v1, v2, 3, 0
	v_lshl_add_u32 v1, v35, 2, v1
	.loc	2 293 36                        ; standard.py:293:36 @[ attention_bwd.py:19:19 ]
	v_mov_b32_e32 v2, s21
	ds_write_b32 v1, v2
	s_or_b64 exec, exec, s[0:1]
	s_and_saveexec_b64 s[0:1], vcc
	s_cbranch_execz .LBB0_14
.LBB0_53:
	.loc	2 0 36                          ; standard.py:0:36
	v_lshl_add_u32 v1, v3, 3, 0
	v_lshl_add_u32 v1, v35, 2, v1
	.loc	2 293 36                        ; standard.py:293:36 @[ attention_bwd.py:19:19 ]
	v_mov_b32_e32 v2, s19
	ds_write_b32 v1, v2
	s_or_b64 exec, exec, s[0:1]
	s_and_saveexec_b64 s[0:1], vcc
	s_cbranch_execz .LBB0_15
.LBB0_54:
	.loc	2 0 36                          ; standard.py:0:36
	v_lshl_add_u32 v1, v4, 3, 0
	v_lshl_add_u32 v1, v35, 2, v1
	.loc	2 293 36                        ; standard.py:293:36 @[ attention_bwd.py:19:19 ]
	v_mov_b32_e32 v2, s27
	ds_write_b32 v1, v2
	s_or_b64 exec, exec, s[0:1]
	s_and_saveexec_b64 s[0:1], vcc
	s_cbranch_execz .LBB0_16
.LBB0_55:
	.loc	2 0 36                          ; standard.py:0:36
	v_lshl_add_u32 v1, v5, 3, 0
	v_lshl_add_u32 v1, v35, 2, v1
	.loc	2 293 36                        ; standard.py:293:36 @[ attention_bwd.py:19:19 ]
	v_mov_b32_e32 v2, s25
	ds_write_b32 v1, v2
	s_or_b64 exec, exec, s[0:1]
	s_and_saveexec_b64 s[0:1], vcc
	s_cbranch_execz .LBB0_17
.LBB0_56:
	.loc	2 0 36                          ; standard.py:0:36
	v_lshl_add_u32 v1, v6, 3, 0
	v_lshl_add_u32 v1, v35, 2, v1
	.loc	2 293 36                        ; standard.py:293:36 @[ attention_bwd.py:19:19 ]
	v_mov_b32_e32 v2, s24
	ds_write_b32 v1, v2
	s_or_b64 exec, exec, s[0:1]
	s_and_saveexec_b64 s[0:1], vcc
	s_cbranch_execz .LBB0_18
.LBB0_57:
	.loc	2 0 36                          ; standard.py:0:36
	v_lshl_add_u32 v1, v7, 3, 0
	v_lshl_add_u32 v1, v35, 2, v1
	.loc	2 293 36                        ; standard.py:293:36 @[ attention_bwd.py:19:19 ]
	v_mov_b32_e32 v2, s22
	ds_write_b32 v1, v2
	s_or_b64 exec, exec, s[0:1]
	s_and_saveexec_b64 s[0:1], vcc
	s_cbranch_execz .LBB0_19
.LBB0_58:
	.loc	2 0 36                          ; standard.py:0:36
	v_lshl_add_u32 v1, v8, 3, 0
	v_lshl_add_u32 v1, v35, 2, v1
	.loc	2 293 36                        ; standard.py:293:36 @[ attention_bwd.py:19:19 ]
	v_mov_b32_e32 v2, s20
	ds_write_b32 v1, v2
	s_or_b64 exec, exec, s[0:1]
	s_and_saveexec_b64 s[0:1], vcc
	s_cbranch_execz .LBB0_20
.LBB0_59:
	.loc	2 0 36                          ; standard.py:0:36
	v_lshl_add_u32 v1, v9, 3, 0
	v_lshl_add_u32 v1, v35, 2, v1
	.loc	2 293 36                        ; standard.py:293:36 @[ attention_bwd.py:19:19 ]
	v_mov_b32_e32 v2, s18
	ds_write_b32 v1, v2
	s_or_b64 exec, exec, s[0:1]
	s_and_saveexec_b64 s[0:1], vcc
	s_cbranch_execz .LBB0_21
.LBB0_60:
	.loc	2 0 36                          ; standard.py:0:36
	v_lshl_add_u32 v1, v10, 3, 0
	v_lshl_add_u32 v1, v35, 2, v1
	.loc	2 293 36                        ; standard.py:293:36 @[ attention_bwd.py:19:19 ]
	v_mov_b32_e32 v2, s17
	ds_write_b32 v1, v2
	s_or_b64 exec, exec, s[0:1]
	s_and_saveexec_b64 s[0:1], vcc
	s_cbranch_execz .LBB0_22
.LBB0_61:
	.loc	2 0 36                          ; standard.py:0:36
	v_lshl_add_u32 v1, v11, 3, 0
	v_lshl_add_u32 v1, v35, 2, v1
	.loc	2 293 36                        ; standard.py:293:36 @[ attention_bwd.py:19:19 ]
	v_mov_b32_e32 v2, s16
	ds_write_b32 v1, v2
	s_or_b64 exec, exec, s[0:1]
	s_and_saveexec_b64 s[0:1], vcc
	s_cbranch_execz .LBB0_23
.LBB0_62:
	.loc	2 0 36                          ; standard.py:0:36
	v_lshl_add_u32 v1, v12, 3, 0
	v_lshl_add_u32 v1, v35, 2, v1
	.loc	2 293 36                        ; standard.py:293:36 @[ attention_bwd.py:19:19 ]
	v_mov_b32_e32 v2, s15
	ds_write_b32 v1, v2
	s_or_b64 exec, exec, s[0:1]
	s_and_saveexec_b64 s[0:1], vcc
	s_cbranch_execz .LBB0_24
.LBB0_63:
	.loc	2 0 36                          ; standard.py:0:36
	v_lshl_add_u32 v1, v13, 3, 0
	v_lshl_add_u32 v1, v35, 2, v1
	.loc	2 293 36                        ; standard.py:293:36 @[ attention_bwd.py:19:19 ]
	v_mov_b32_e32 v2, s14
	ds_write_b32 v1, v2
	s_or_b64 exec, exec, s[0:1]
	s_and_saveexec_b64 s[0:1], vcc
	s_cbranch_execz .LBB0_25
.LBB0_64:
	.loc	2 0 36                          ; standard.py:0:36
	v_lshl_add_u32 v1, v14, 3, 0
	v_lshl_add_u32 v1, v35, 2, v1
	.loc	2 293 36                        ; standard.py:293:36 @[ attention_bwd.py:19:19 ]
	v_mov_b32_e32 v2, s13
	ds_write_b32 v1, v2
	s_or_b64 exec, exec, s[0:1]
	s_and_saveexec_b64 s[0:1], vcc
	s_cbranch_execz .LBB0_26
.LBB0_65:
	.loc	2 0 36                          ; standard.py:0:36
	v_lshl_add_u32 v1, v15, 3, 0
	v_lshl_add_u32 v1, v35, 2, v1
	.loc	2 293 36                        ; standard.py:293:36 @[ attention_bwd.py:19:19 ]
	v_mov_b32_e32 v2, s12
	ds_write_b32 v1, v2
	s_or_b64 exec, exec, s[0:1]
	s_and_saveexec_b64 s[0:1], vcc
	s_cbranch_execz .LBB0_27
.LBB0_66:
	.loc	2 0 36                          ; standard.py:0:36
	v_lshl_add_u32 v1, v16, 3, 0
	v_lshl_add_u32 v1, v35, 2, v1
	.loc	2 293 36                        ; standard.py:293:36 @[ attention_bwd.py:19:19 ]
	v_mov_b32_e32 v2, s9
	ds_write_b32 v1, v2
	s_or_b64 exec, exec, s[0:1]
	s_and_saveexec_b64 s[0:1], vcc
	s_cbranch_execz .LBB0_28
.LBB0_67:
	.loc	2 0 36                          ; standard.py:0:36
	v_lshl_add_u32 v1, v17, 3, 0
	v_lshl_add_u32 v1, v35, 2, v1
	.loc	2 293 36                        ; standard.py:293:36 @[ attention_bwd.py:19:19 ]
	v_mov_b32_e32 v2, s8
	ds_write_b32 v1, v2
	s_or_b64 exec, exec, s[0:1]
	s_and_saveexec_b64 s[0:1], vcc
	s_cbranch_execz .LBB0_29
.LBB0_68:
	.loc	2 0 36                          ; standard.py:0:36
	v_lshl_add_u32 v1, v18, 3, 0
	v_lshl_add_u32 v1, v35, 2, v1
	.loc	2 293 36                        ; standard.py:293:36 @[ attention_bwd.py:19:19 ]
	v_mov_b32_e32 v2, s7
	ds_write_b32 v1, v2
	s_or_b64 exec, exec, s[0:1]
	s_and_saveexec_b64 s[0:1], vcc
	s_cbranch_execz .LBB0_30
.LBB0_69:
	.loc	2 0 36                          ; standard.py:0:36
	v_lshl_add_u32 v1, v19, 3, 0
	v_lshl_add_u32 v1, v35, 2, v1
	.loc	2 293 36                        ; standard.py:293:36 @[ attention_bwd.py:19:19 ]
	v_mov_b32_e32 v2, s6
	ds_write_b32 v1, v2
	s_or_b64 exec, exec, s[0:1]
	s_and_saveexec_b64 s[0:1], vcc
	s_cbranch_execz .LBB0_31
.LBB0_70:
	.loc	2 0 36                          ; standard.py:0:36
	v_lshl_add_u32 v1, v21, 3, 0
	v_lshl_add_u32 v1, v35, 2, v1
	.loc	2 293 36                        ; standard.py:293:36 @[ attention_bwd.py:19:19 ]
	v_mov_b32_e32 v2, s5
	ds_write_b32 v1, v2
	s_or_b64 exec, exec, s[0:1]
	s_and_saveexec_b64 s[0:1], vcc
	s_cbranch_execnz .LBB0_32
	s_branch .LBB0_33
.Ltmp251:
	.section	.rodata,"a",@progbits
	.p2align	6, 0x0
	.amdhsa_kernel _attn_bwd_preprocess
		.amdhsa_group_segment_fixed_size 0
		.amdhsa_private_segment_fixed_size 0
		.amdhsa_kernarg_size 56
		.amdhsa_user_sgpr_count 15
		.amdhsa_user_sgpr_private_segment_buffer 1
		.amdhsa_user_sgpr_dispatch_ptr 0
		.amdhsa_user_sgpr_queue_ptr 0
		.amdhsa_user_sgpr_kernarg_segment_ptr 1
		.amdhsa_user_sgpr_dispatch_id 0
		.amdhsa_user_sgpr_flat_scratch_init 0
		.amdhsa_user_sgpr_kernarg_preload_length 9
		.amdhsa_user_sgpr_kernarg_preload_offset 0
		.amdhsa_user_sgpr_private_segment_size 0
		.amdhsa_uses_dynamic_stack 0
		.amdhsa_system_sgpr_private_segment_wavefront_offset 0
		.amdhsa_system_sgpr_workgroup_id_x 1
		.amdhsa_system_sgpr_workgroup_id_y 1
		.amdhsa_system_sgpr_workgroup_id_z 0
		.amdhsa_system_sgpr_workgroup_info 0
		.amdhsa_system_vgpr_workitem_id 0
		.amdhsa_next_free_vgpr 153
		.amdhsa_next_free_sgpr 39
		.amdhsa_accum_offset 156
		.amdhsa_reserve_vcc 1
		.amdhsa_reserve_flat_scratch 0
		.amdhsa_reserve_xnack_mask 1
		.amdhsa_float_round_mode_32 0
		.amdhsa_float_round_mode_16_64 0
		.amdhsa_float_denorm_mode_32 3
		.amdhsa_float_denorm_mode_16_64 3
		.amdhsa_dx10_clamp 1
		.amdhsa_ieee_mode 1
		.amdhsa_fp16_overflow 0
		.amdhsa_tg_split 0
		.amdhsa_exception_fp_ieee_invalid_op 0
		.amdhsa_exception_fp_denorm_src 0
		.amdhsa_exception_fp_ieee_div_zero 0
		.amdhsa_exception_fp_ieee_overflow 0
		.amdhsa_exception_fp_ieee_underflow 0
		.amdhsa_exception_fp_ieee_inexact 0
		.amdhsa_exception_int_div_zero 0
	.end_amdhsa_kernel
	.text
.Lfunc_end0:
	.size	_attn_bwd_preprocess, .Lfunc_end0-_attn_bwd_preprocess
	.cfi_endproc
                                        ; -- End function
	.set _attn_bwd_preprocess.num_vgpr, 153
	.set _attn_bwd_preprocess.num_agpr, 0
	.set _attn_bwd_preprocess.numbered_sgpr, 39
	.set _attn_bwd_preprocess.num_named_barrier, 0
	.set _attn_bwd_preprocess.private_seg_size, 0
	.set _attn_bwd_preprocess.uses_vcc, 1
	.set _attn_bwd_preprocess.uses_flat_scratch, 0
	.set _attn_bwd_preprocess.has_dyn_sized_stack, 0
	.set _attn_bwd_preprocess.has_recursion, 0
	.set _attn_bwd_preprocess.has_indirect_call, 0
	.section	.AMDGPU.csdata,"",@progbits
; Kernel info:
; codeLenInByte = 8444
; TotalNumSgprs: 43
; NumVgprs: 153
; NumAgprs: 0
; TotalNumVgprs: 153
; ScratchSize: 0
; MemoryBound: 0
; FloatMode: 240
; IeeeMode: 1
; LDSByteSize: 0 bytes/workgroup (compile time only)
; SGPRBlocks: 5
; VGPRBlocks: 19
; NumSGPRsForWavesPerEU: 43
; NumVGPRsForWavesPerEU: 153
; AccumOffset: 156
; Occupancy: 3
; WaveLimiterHint : 0
; COMPUTE_PGM_RSRC2:SCRATCH_EN: 0
; COMPUTE_PGM_RSRC2:USER_SGPR: 15
; COMPUTE_PGM_RSRC2:TRAP_HANDLER: 0
; COMPUTE_PGM_RSRC2:TGID_X_EN: 1
; COMPUTE_PGM_RSRC2:TGID_Y_EN: 1
; COMPUTE_PGM_RSRC2:TGID_Z_EN: 0
; COMPUTE_PGM_RSRC2:TIDIG_COMP_CNT: 0
; COMPUTE_PGM_RSRC3_GFX90A:ACCUM_OFFSET: 38
; COMPUTE_PGM_RSRC3_GFX90A:TG_SPLIT: 0
	.text
	.p2alignl 6, 3212836864
	.fill 256, 4, 3212836864
	.section	.AMDGPU.gpr_maximums,"",@progbits
	.set amdgpu.max_num_vgpr, 0
	.set amdgpu.max_num_agpr, 0
	.set amdgpu.max_num_sgpr, 0
	.set amdgpu.max_num_named_barrier, 0
	.text
	.section	.debug_abbrev,"",@progbits
	.byte	1                               ; Abbreviation Code
	.byte	17                              ; DW_TAG_compile_unit
	.byte	1                               ; DW_CHILDREN_yes
	.byte	37                              ; DW_AT_producer
	.byte	14                              ; DW_FORM_strp
	.byte	19                              ; DW_AT_language
	.byte	5                               ; DW_FORM_data2
	.byte	3                               ; DW_AT_name
	.byte	14                              ; DW_FORM_strp
	.byte	16                              ; DW_AT_stmt_list
	.byte	23                              ; DW_FORM_sec_offset
	.byte	27                              ; DW_AT_comp_dir
	.byte	14                              ; DW_FORM_strp
	.byte	17                              ; DW_AT_low_pc
	.byte	1                               ; DW_FORM_addr
	.byte	18                              ; DW_AT_high_pc
	.byte	6                               ; DW_FORM_data4
	.byte	0                               ; EOM(1)
	.byte	0                               ; EOM(2)
	.byte	2                               ; Abbreviation Code
	.byte	46                              ; DW_TAG_subprogram
	.byte	0                               ; DW_CHILDREN_no
	.byte	3                               ; DW_AT_name
	.byte	14                              ; DW_FORM_strp
	.byte	32                              ; DW_AT_inline
	.byte	11                              ; DW_FORM_data1
	.byte	0                               ; EOM(1)
	.byte	0                               ; EOM(2)
	.byte	3                               ; Abbreviation Code
	.byte	46                              ; DW_TAG_subprogram
	.byte	1                               ; DW_CHILDREN_yes
	.byte	17                              ; DW_AT_low_pc
	.byte	1                               ; DW_FORM_addr
	.byte	18                              ; DW_AT_high_pc
	.byte	6                               ; DW_FORM_data4
	.byte	49                              ; DW_AT_abstract_origin
	.byte	19                              ; DW_FORM_ref4
	.byte	0                               ; EOM(1)
	.byte	0                               ; EOM(2)
	.byte	4                               ; Abbreviation Code
	.byte	29                              ; DW_TAG_inlined_subroutine
	.byte	1                               ; DW_CHILDREN_yes
	.byte	49                              ; DW_AT_abstract_origin
	.byte	19                              ; DW_FORM_ref4
	.byte	85                              ; DW_AT_ranges
	.byte	23                              ; DW_FORM_sec_offset
	.byte	88                              ; DW_AT_call_file
	.byte	11                              ; DW_FORM_data1
	.byte	89                              ; DW_AT_call_line
	.byte	11                              ; DW_FORM_data1
	.byte	87                              ; DW_AT_call_column
	.byte	11                              ; DW_FORM_data1
	.byte	0                               ; EOM(1)
	.byte	0                               ; EOM(2)
	.byte	5                               ; Abbreviation Code
	.byte	29                              ; DW_TAG_inlined_subroutine
	.byte	0                               ; DW_CHILDREN_no
	.byte	49                              ; DW_AT_abstract_origin
	.byte	19                              ; DW_FORM_ref4
	.byte	85                              ; DW_AT_ranges
	.byte	23                              ; DW_FORM_sec_offset
	.byte	88                              ; DW_AT_call_file
	.byte	11                              ; DW_FORM_data1
	.byte	89                              ; DW_AT_call_line
	.byte	5                               ; DW_FORM_data2
	.byte	87                              ; DW_AT_call_column
	.byte	11                              ; DW_FORM_data1
	.byte	0                               ; EOM(1)
	.byte	0                               ; EOM(2)
	;; [unrolled: 1-line block ×3, first 2 shown]
	.section	.debug_info,"",@progbits
.Lcu_begin0:
	.long	.Ldebug_info_end0-.Ldebug_info_start0 ; Length of Unit
.Ldebug_info_start0:
	.short	4                               ; DWARF version number
	.long	.debug_abbrev                   ; Offset Into Abbrev. Section
	.byte	8                               ; Address Size (in bytes)
	.byte	1                               ; Abbrev [1] 0xb:0x52 DW_TAG_compile_unit
	.long	.Linfo_string0                  ; DW_AT_producer
	.short	2                               ; DW_AT_language
	.long	.Linfo_string1                  ; DW_AT_name
	.long	.Lline_table_start0             ; DW_AT_stmt_list
	.long	.Linfo_string2                  ; DW_AT_comp_dir
	.quad	.Lfunc_begin0                   ; DW_AT_low_pc
	.long	.Lfunc_end0-.Lfunc_begin0       ; DW_AT_high_pc
	.byte	2                               ; Abbrev [2] 0x2a:0x6 DW_TAG_subprogram
	.long	.Linfo_string3                  ; DW_AT_name
	.byte	1                               ; DW_AT_inline
	.byte	3                               ; Abbrev [3] 0x30:0x2c DW_TAG_subprogram
	.quad	.Lfunc_begin0                   ; DW_AT_low_pc
	.long	.Lfunc_end0-.Lfunc_begin0       ; DW_AT_high_pc
	.long	42                              ; DW_AT_abstract_origin
	.byte	4                               ; Abbrev [4] 0x41:0x1a DW_TAG_inlined_subroutine
	.long	42                              ; DW_AT_abstract_origin
	.long	.Ldebug_ranges0                 ; DW_AT_ranges
	.byte	1                               ; DW_AT_call_file
	.byte	19                              ; DW_AT_call_line
	.byte	19                              ; DW_AT_call_column
	.byte	5                               ; Abbrev [5] 0x4d:0xd DW_TAG_inlined_subroutine
	.long	42                              ; DW_AT_abstract_origin
	.long	.Ldebug_ranges1                 ; DW_AT_ranges
	.byte	2                               ; DW_AT_call_file
	.short	293                             ; DW_AT_call_line
	.byte	36                              ; DW_AT_call_column
	.byte	0                               ; End Of Children Mark
	.byte	0                               ; End Of Children Mark
	;; [unrolled: 1-line block ×3, first 2 shown]
.Ldebug_info_end0:
	.section	.debug_ranges,"",@progbits
.Ldebug_ranges0:
	.quad	.Ltmp2-.Lfunc_begin0
	.quad	.Ltmp4-.Lfunc_begin0
	;; [unrolled: 1-line block ×100, first 2 shown]
	.quad	0
	.quad	0
.Ldebug_ranges1:
	.quad	.Ltmp3-.Lfunc_begin0
	.quad	.Ltmp4-.Lfunc_begin0
	;; [unrolled: 1-line block ×210, first 2 shown]
	.quad	0
	.quad	0
	.section	.debug_str,"MS",@progbits,1
.Linfo_string0:
	.asciz	"triton"                        ; string offset=0
.Linfo_string1:
	.asciz	"attention_bwd.py"              ; string offset=7
.Linfo_string2:
	.asciz	"/root/src/amdgpu-assembly/repos/triton-lang__triton-aot" ; string offset=24
.Linfo_string3:
	.asciz	"_attn_bwd_preprocess"          ; string offset=80
	.section	".note.GNU-stack","",@progbits
	.amdgpu_metadata
---
amdhsa.kernels:
  - .agpr_count:     0
    .args:
      - .address_space:  global
        .offset:         0
        .size:           8
        .value_kind:     global_buffer
      - .address_space:  global
        .offset:         8
        .size:           8
        .value_kind:     global_buffer
      - .address_space:  global
        .offset:         16
        .size:           8
        .value_kind:     global_buffer
      - .offset:         24
        .size:           4
        .value_kind:     by_value
      - .offset:         28
        .size:           4
        .value_kind:     by_value
      - .offset:         32
        .size:           4
        .value_kind:     by_value
      - .address_space:  global
        .offset:         40
        .size:           8
        .value_kind:     global_buffer
      - .address_space:  global
        .offset:         48
        .size:           8
        .value_kind:     global_buffer
    .group_segment_fixed_size: 0
    .kernarg_segment_align: 8
    .kernarg_segment_size: 56
    .max_flat_workgroup_size: 256
    .name:           _attn_bwd_preprocess
    .private_segment_fixed_size: 0
    .sgpr_count:     43
    .sgpr_spill_count: 0
    .symbol:         _attn_bwd_preprocess.kd
    .uniform_work_group_size: 1
    .uses_dynamic_stack: false
    .vgpr_count:     153
    .vgpr_spill_count: 0
    .wavefront_size: 64
amdhsa.target:   amdgcn-amd-amdhsa--gfx90a
amdhsa.version:
  - 1
  - 2
...

	.end_amdgpu_metadata
	.section	.debug_line,"",@progbits
.Lline_table_start0:
